;; amdgpu-corpus repo=ROCm/rocFFT kind=compiled arch=gfx1201 opt=O3
	.text
	.amdgcn_target "amdgcn-amd-amdhsa--gfx1201"
	.amdhsa_code_object_version 6
	.protected	fft_rtc_back_len2016_factors_2_2_2_2_2_3_3_7_wgs_224_tpt_112_halfLds_sp_ip_CI_unitstride_sbrr_C2R_dirReg ; -- Begin function fft_rtc_back_len2016_factors_2_2_2_2_2_3_3_7_wgs_224_tpt_112_halfLds_sp_ip_CI_unitstride_sbrr_C2R_dirReg
	.globl	fft_rtc_back_len2016_factors_2_2_2_2_2_3_3_7_wgs_224_tpt_112_halfLds_sp_ip_CI_unitstride_sbrr_C2R_dirReg
	.p2align	8
	.type	fft_rtc_back_len2016_factors_2_2_2_2_2_3_3_7_wgs_224_tpt_112_halfLds_sp_ip_CI_unitstride_sbrr_C2R_dirReg,@function
fft_rtc_back_len2016_factors_2_2_2_2_2_3_3_7_wgs_224_tpt_112_halfLds_sp_ip_CI_unitstride_sbrr_C2R_dirReg: ; @fft_rtc_back_len2016_factors_2_2_2_2_2_3_3_7_wgs_224_tpt_112_halfLds_sp_ip_CI_unitstride_sbrr_C2R_dirReg
; %bb.0:
	s_clause 0x2
	s_load_b128 s[4:7], s[0:1], 0x0
	s_load_b64 s[8:9], s[0:1], 0x50
	s_load_b64 s[10:11], s[0:1], 0x18
	v_mul_u32_u24_e32 v1, 0x24a, v0
	v_mov_b32_e32 v3, 0
	s_delay_alu instid0(VALU_DEP_2) | instskip(SKIP_2) | instid1(VALU_DEP_4)
	v_lshrrev_b32_e32 v9, 16, v1
	v_mov_b32_e32 v1, 0
	v_mov_b32_e32 v2, 0
	;; [unrolled: 1-line block ×3, first 2 shown]
	s_delay_alu instid0(VALU_DEP_4) | instskip(SKIP_2) | instid1(VALU_DEP_1)
	v_lshl_add_u32 v5, ttmp9, 1, v9
	s_wait_kmcnt 0x0
	v_cmp_lt_u64_e64 s2, s[6:7], 2
	s_and_b32 vcc_lo, exec_lo, s2
	s_cbranch_vccnz .LBB0_8
; %bb.1:
	s_load_b64 s[2:3], s[0:1], 0x10
	v_mov_b32_e32 v1, 0
	v_mov_b32_e32 v2, 0
	s_add_nc_u64 s[12:13], s[10:11], 8
	s_mov_b64 s[14:15], 1
	s_wait_kmcnt 0x0
	s_add_nc_u64 s[16:17], s[2:3], 8
	s_mov_b32 s3, 0
.LBB0_2:                                ; =>This Inner Loop Header: Depth=1
	s_load_b64 s[18:19], s[16:17], 0x0
                                        ; implicit-def: $vgpr7_vgpr8
	s_mov_b32 s2, exec_lo
	s_wait_kmcnt 0x0
	v_or_b32_e32 v4, s19, v6
	s_delay_alu instid0(VALU_DEP_1)
	v_cmpx_ne_u64_e32 0, v[3:4]
	s_wait_alu 0xfffe
	s_xor_b32 s20, exec_lo, s2
	s_cbranch_execz .LBB0_4
; %bb.3:                                ;   in Loop: Header=BB0_2 Depth=1
	s_cvt_f32_u32 s2, s18
	s_cvt_f32_u32 s21, s19
	s_sub_nc_u64 s[24:25], 0, s[18:19]
	s_wait_alu 0xfffe
	s_delay_alu instid0(SALU_CYCLE_1) | instskip(SKIP_1) | instid1(SALU_CYCLE_2)
	s_fmamk_f32 s2, s21, 0x4f800000, s2
	s_wait_alu 0xfffe
	v_s_rcp_f32 s2, s2
	s_delay_alu instid0(TRANS32_DEP_1) | instskip(SKIP_1) | instid1(SALU_CYCLE_2)
	s_mul_f32 s2, s2, 0x5f7ffffc
	s_wait_alu 0xfffe
	s_mul_f32 s21, s2, 0x2f800000
	s_wait_alu 0xfffe
	s_delay_alu instid0(SALU_CYCLE_2) | instskip(SKIP_1) | instid1(SALU_CYCLE_2)
	s_trunc_f32 s21, s21
	s_wait_alu 0xfffe
	s_fmamk_f32 s2, s21, 0xcf800000, s2
	s_cvt_u32_f32 s23, s21
	s_wait_alu 0xfffe
	s_delay_alu instid0(SALU_CYCLE_1) | instskip(SKIP_1) | instid1(SALU_CYCLE_2)
	s_cvt_u32_f32 s22, s2
	s_wait_alu 0xfffe
	s_mul_u64 s[26:27], s[24:25], s[22:23]
	s_wait_alu 0xfffe
	s_mul_hi_u32 s29, s22, s27
	s_mul_i32 s28, s22, s27
	s_mul_hi_u32 s2, s22, s26
	s_mul_i32 s30, s23, s26
	s_wait_alu 0xfffe
	s_add_nc_u64 s[28:29], s[2:3], s[28:29]
	s_mul_hi_u32 s21, s23, s26
	s_mul_hi_u32 s31, s23, s27
	s_add_co_u32 s2, s28, s30
	s_wait_alu 0xfffe
	s_add_co_ci_u32 s2, s29, s21
	s_mul_i32 s26, s23, s27
	s_add_co_ci_u32 s27, s31, 0
	s_wait_alu 0xfffe
	s_add_nc_u64 s[26:27], s[2:3], s[26:27]
	s_wait_alu 0xfffe
	v_add_co_u32 v4, s2, s22, s26
	s_delay_alu instid0(VALU_DEP_1) | instskip(SKIP_1) | instid1(VALU_DEP_1)
	s_cmp_lg_u32 s2, 0
	s_add_co_ci_u32 s23, s23, s27
	v_readfirstlane_b32 s22, v4
	s_wait_alu 0xfffe
	s_delay_alu instid0(VALU_DEP_1)
	s_mul_u64 s[24:25], s[24:25], s[22:23]
	s_wait_alu 0xfffe
	s_mul_hi_u32 s27, s22, s25
	s_mul_i32 s26, s22, s25
	s_mul_hi_u32 s2, s22, s24
	s_mul_i32 s28, s23, s24
	s_wait_alu 0xfffe
	s_add_nc_u64 s[26:27], s[2:3], s[26:27]
	s_mul_hi_u32 s21, s23, s24
	s_mul_hi_u32 s22, s23, s25
	s_wait_alu 0xfffe
	s_add_co_u32 s2, s26, s28
	s_add_co_ci_u32 s2, s27, s21
	s_mul_i32 s24, s23, s25
	s_add_co_ci_u32 s25, s22, 0
	s_wait_alu 0xfffe
	s_add_nc_u64 s[24:25], s[2:3], s[24:25]
	s_wait_alu 0xfffe
	v_add_co_u32 v4, s2, v4, s24
	s_delay_alu instid0(VALU_DEP_1) | instskip(SKIP_1) | instid1(VALU_DEP_1)
	s_cmp_lg_u32 s2, 0
	s_add_co_ci_u32 s2, s23, s25
	v_mul_hi_u32 v14, v5, v4
	s_wait_alu 0xfffe
	v_mad_co_u64_u32 v[7:8], null, v5, s2, 0
	v_mad_co_u64_u32 v[10:11], null, v6, v4, 0
	;; [unrolled: 1-line block ×3, first 2 shown]
	s_delay_alu instid0(VALU_DEP_3) | instskip(SKIP_1) | instid1(VALU_DEP_4)
	v_add_co_u32 v4, vcc_lo, v14, v7
	s_wait_alu 0xfffd
	v_add_co_ci_u32_e32 v7, vcc_lo, 0, v8, vcc_lo
	s_delay_alu instid0(VALU_DEP_2) | instskip(SKIP_1) | instid1(VALU_DEP_2)
	v_add_co_u32 v4, vcc_lo, v4, v10
	s_wait_alu 0xfffd
	v_add_co_ci_u32_e32 v4, vcc_lo, v7, v11, vcc_lo
	s_wait_alu 0xfffd
	v_add_co_ci_u32_e32 v7, vcc_lo, 0, v13, vcc_lo
	s_delay_alu instid0(VALU_DEP_2) | instskip(SKIP_1) | instid1(VALU_DEP_2)
	v_add_co_u32 v4, vcc_lo, v4, v12
	s_wait_alu 0xfffd
	v_add_co_ci_u32_e32 v10, vcc_lo, 0, v7, vcc_lo
	s_delay_alu instid0(VALU_DEP_2) | instskip(SKIP_1) | instid1(VALU_DEP_3)
	v_mul_lo_u32 v11, s19, v4
	v_mad_co_u64_u32 v[7:8], null, s18, v4, 0
	v_mul_lo_u32 v12, s18, v10
	s_delay_alu instid0(VALU_DEP_2) | instskip(NEXT) | instid1(VALU_DEP_2)
	v_sub_co_u32 v7, vcc_lo, v5, v7
	v_add3_u32 v8, v8, v12, v11
	s_delay_alu instid0(VALU_DEP_1) | instskip(SKIP_1) | instid1(VALU_DEP_1)
	v_sub_nc_u32_e32 v11, v6, v8
	s_wait_alu 0xfffd
	v_subrev_co_ci_u32_e64 v11, s2, s19, v11, vcc_lo
	v_add_co_u32 v12, s2, v4, 2
	s_wait_alu 0xf1ff
	v_add_co_ci_u32_e64 v13, s2, 0, v10, s2
	v_sub_co_u32 v14, s2, v7, s18
	v_sub_co_ci_u32_e32 v8, vcc_lo, v6, v8, vcc_lo
	s_wait_alu 0xf1ff
	v_subrev_co_ci_u32_e64 v11, s2, 0, v11, s2
	s_delay_alu instid0(VALU_DEP_3) | instskip(NEXT) | instid1(VALU_DEP_3)
	v_cmp_le_u32_e32 vcc_lo, s18, v14
	v_cmp_eq_u32_e64 s2, s19, v8
	s_wait_alu 0xfffd
	v_cndmask_b32_e64 v14, 0, -1, vcc_lo
	v_cmp_le_u32_e32 vcc_lo, s19, v11
	s_wait_alu 0xfffd
	v_cndmask_b32_e64 v15, 0, -1, vcc_lo
	v_cmp_le_u32_e32 vcc_lo, s18, v7
	;; [unrolled: 3-line block ×3, first 2 shown]
	s_wait_alu 0xfffd
	v_cndmask_b32_e64 v16, 0, -1, vcc_lo
	v_cmp_eq_u32_e32 vcc_lo, s19, v11
	s_wait_alu 0xf1ff
	s_delay_alu instid0(VALU_DEP_2)
	v_cndmask_b32_e64 v7, v16, v7, s2
	s_wait_alu 0xfffd
	v_cndmask_b32_e32 v11, v15, v14, vcc_lo
	v_add_co_u32 v14, vcc_lo, v4, 1
	s_wait_alu 0xfffd
	v_add_co_ci_u32_e32 v15, vcc_lo, 0, v10, vcc_lo
	s_delay_alu instid0(VALU_DEP_3) | instskip(SKIP_1) | instid1(VALU_DEP_2)
	v_cmp_ne_u32_e32 vcc_lo, 0, v11
	s_wait_alu 0xfffd
	v_dual_cndmask_b32 v8, v15, v13 :: v_dual_cndmask_b32 v11, v14, v12
	v_cmp_ne_u32_e32 vcc_lo, 0, v7
	s_wait_alu 0xfffd
	s_delay_alu instid0(VALU_DEP_2)
	v_dual_cndmask_b32 v8, v10, v8 :: v_dual_cndmask_b32 v7, v4, v11
.LBB0_4:                                ;   in Loop: Header=BB0_2 Depth=1
	s_wait_alu 0xfffe
	s_and_not1_saveexec_b32 s2, s20
	s_cbranch_execz .LBB0_6
; %bb.5:                                ;   in Loop: Header=BB0_2 Depth=1
	v_cvt_f32_u32_e32 v4, s18
	s_sub_co_i32 s20, 0, s18
	s_delay_alu instid0(VALU_DEP_1) | instskip(NEXT) | instid1(TRANS32_DEP_1)
	v_rcp_iflag_f32_e32 v4, v4
	v_mul_f32_e32 v4, 0x4f7ffffe, v4
	s_delay_alu instid0(VALU_DEP_1) | instskip(SKIP_1) | instid1(VALU_DEP_1)
	v_cvt_u32_f32_e32 v4, v4
	s_wait_alu 0xfffe
	v_mul_lo_u32 v7, s20, v4
	s_delay_alu instid0(VALU_DEP_1) | instskip(NEXT) | instid1(VALU_DEP_1)
	v_mul_hi_u32 v7, v4, v7
	v_add_nc_u32_e32 v4, v4, v7
	s_delay_alu instid0(VALU_DEP_1) | instskip(NEXT) | instid1(VALU_DEP_1)
	v_mul_hi_u32 v4, v5, v4
	v_mul_lo_u32 v7, v4, s18
	v_add_nc_u32_e32 v8, 1, v4
	s_delay_alu instid0(VALU_DEP_2) | instskip(NEXT) | instid1(VALU_DEP_1)
	v_sub_nc_u32_e32 v7, v5, v7
	v_subrev_nc_u32_e32 v10, s18, v7
	v_cmp_le_u32_e32 vcc_lo, s18, v7
	s_wait_alu 0xfffd
	s_delay_alu instid0(VALU_DEP_2) | instskip(NEXT) | instid1(VALU_DEP_1)
	v_dual_cndmask_b32 v7, v7, v10 :: v_dual_cndmask_b32 v4, v4, v8
	v_cmp_le_u32_e32 vcc_lo, s18, v7
	s_delay_alu instid0(VALU_DEP_2) | instskip(SKIP_1) | instid1(VALU_DEP_1)
	v_add_nc_u32_e32 v8, 1, v4
	s_wait_alu 0xfffd
	v_dual_cndmask_b32 v7, v4, v8 :: v_dual_mov_b32 v8, v3
.LBB0_6:                                ;   in Loop: Header=BB0_2 Depth=1
	s_wait_alu 0xfffe
	s_or_b32 exec_lo, exec_lo, s2
	s_load_b64 s[20:21], s[12:13], 0x0
	s_delay_alu instid0(VALU_DEP_1)
	v_mul_lo_u32 v4, v8, s18
	v_mul_lo_u32 v12, v7, s19
	v_mad_co_u64_u32 v[10:11], null, v7, s18, 0
	s_add_nc_u64 s[14:15], s[14:15], 1
	s_add_nc_u64 s[12:13], s[12:13], 8
	s_wait_alu 0xfffe
	v_cmp_ge_u64_e64 s2, s[14:15], s[6:7]
	s_add_nc_u64 s[16:17], s[16:17], 8
	s_delay_alu instid0(VALU_DEP_2) | instskip(NEXT) | instid1(VALU_DEP_3)
	v_add3_u32 v4, v11, v12, v4
	v_sub_co_u32 v5, vcc_lo, v5, v10
	s_wait_alu 0xfffd
	s_delay_alu instid0(VALU_DEP_2) | instskip(SKIP_3) | instid1(VALU_DEP_2)
	v_sub_co_ci_u32_e32 v4, vcc_lo, v6, v4, vcc_lo
	s_and_b32 vcc_lo, exec_lo, s2
	s_wait_kmcnt 0x0
	v_mul_lo_u32 v6, s21, v5
	v_mul_lo_u32 v4, s20, v4
	v_mad_co_u64_u32 v[1:2], null, s20, v5, v[1:2]
	s_delay_alu instid0(VALU_DEP_1)
	v_add3_u32 v2, v6, v2, v4
	s_wait_alu 0xfffe
	s_cbranch_vccnz .LBB0_9
; %bb.7:                                ;   in Loop: Header=BB0_2 Depth=1
	v_dual_mov_b32 v5, v7 :: v_dual_mov_b32 v6, v8
	s_branch .LBB0_2
.LBB0_8:
	v_dual_mov_b32 v8, v6 :: v_dual_mov_b32 v7, v5
.LBB0_9:
	s_lshl_b64 s[2:3], s[6:7], 3
	v_and_b32_e32 v6, 1, v9
	s_wait_alu 0xfffe
	s_add_nc_u64 s[2:3], s[10:11], s[2:3]
	v_mul_hi_u32 v3, 0x2492493, v0
	s_load_b64 s[2:3], s[2:3], 0x0
	s_load_b64 s[0:1], s[0:1], 0x20
	v_cmp_eq_u32_e32 vcc_lo, 1, v6
	s_delay_alu instid0(VALU_DEP_2) | instskip(SKIP_2) | instid1(VALU_DEP_2)
	v_mul_u32_u24_e32 v3, 0x70, v3
	s_wait_alu 0xfffd
	v_cndmask_b32_e64 v47, 0, 0x7e1, vcc_lo
	v_sub_nc_u32_e32 v30, v0, v3
	s_wait_kmcnt 0x0
	v_mul_lo_u32 v4, s2, v8
	v_mul_lo_u32 v5, s3, v7
	v_mad_co_u64_u32 v[1:2], null, s2, v7, v[1:2]
	v_cmp_gt_u64_e32 vcc_lo, s[0:1], v[7:8]
	v_lshlrev_b32_e32 v8, 3, v47
	s_delay_alu instid0(VALU_DEP_3) | instskip(NEXT) | instid1(VALU_DEP_1)
	v_add3_u32 v2, v5, v2, v4
	v_lshlrev_b64_e32 v[32:33], 3, v[1:2]
	s_and_saveexec_b32 s1, vcc_lo
	s_cbranch_execz .LBB0_13
; %bb.10:
	v_mov_b32_e32 v31, 0
	s_delay_alu instid0(VALU_DEP_2) | instskip(SKIP_2) | instid1(VALU_DEP_3)
	v_add_co_u32 v0, s0, s8, v32
	s_wait_alu 0xf1ff
	v_add_co_ci_u32_e64 v1, s0, s9, v33, s0
	v_lshlrev_b64_e32 v[2:3], 3, v[30:31]
	s_mov_b32 s2, exec_lo
	s_delay_alu instid0(VALU_DEP_1) | instskip(SKIP_1) | instid1(VALU_DEP_2)
	v_add_co_u32 v2, s0, v0, v2
	s_wait_alu 0xf1ff
	v_add_co_ci_u32_e64 v3, s0, v1, v3, s0
	s_clause 0x11
	global_load_b64 v[4:5], v[2:3], off
	global_load_b64 v[6:7], v[2:3], off offset:896
	global_load_b64 v[9:10], v[2:3], off offset:1792
	;; [unrolled: 1-line block ×17, first 2 shown]
	v_lshlrev_b32_e32 v2, 3, v30
	s_delay_alu instid0(VALU_DEP_1) | instskip(NEXT) | instid1(VALU_DEP_1)
	v_add3_u32 v2, 0, v8, v2
	v_add_nc_u32_e32 v3, 0x400, v2
	v_add_nc_u32_e32 v29, 0xc00, v2
	;; [unrolled: 1-line block ×8, first 2 shown]
	s_wait_loadcnt 0x10
	ds_store_2addr_b64 v2, v[4:5], v[6:7] offset1:112
	s_wait_loadcnt 0xe
	ds_store_2addr_b64 v3, v[9:10], v[11:12] offset0:96 offset1:208
	s_wait_loadcnt 0xc
	ds_store_2addr_b64 v29, v[13:14], v[15:16] offset0:64 offset1:176
	;; [unrolled: 2-line block ×7, first 2 shown]
	s_wait_loadcnt 0x0
	ds_store_2addr_b64 v51, v[42:43], v[44:45] offset1:112
	v_cmpx_eq_u32_e32 0x6f, v30
	s_cbranch_execz .LBB0_12
; %bb.11:
	global_load_b64 v[0:1], v[0:1], off offset:16128
	v_mov_b32_e32 v30, 0x6f
	s_wait_loadcnt 0x0
	ds_store_b64 v2, v[0:1] offset:15240
.LBB0_12:
	s_wait_alu 0xfffe
	s_or_b32 exec_lo, exec_lo, s2
.LBB0_13:
	s_wait_alu 0xfffe
	s_or_b32 exec_lo, exec_lo, s1
	v_lshl_add_u32 v46, v47, 3, 0
	v_lshlrev_b32_e32 v0, 3, v30
	global_wb scope:SCOPE_SE
	s_wait_dscnt 0x0
	s_barrier_signal -1
	s_barrier_wait -1
	global_inv scope:SCOPE_SE
	v_add_nc_u32_e32 v36, v46, v0
	v_sub_nc_u32_e32 v12, v46, v0
	s_mov_b32 s1, exec_lo
                                        ; implicit-def: $vgpr2_vgpr3
	ds_load_b32 v4, v36
	ds_load_b32 v5, v12 offset:16128
	s_wait_dscnt 0x0
	v_dual_sub_f32 v1, v4, v5 :: v_dual_add_f32 v0, v5, v4
	v_cmpx_ne_u32_e32 0, v30
	s_wait_alu 0xfffe
	s_xor_b32 s1, exec_lo, s1
	s_cbranch_execz .LBB0_15
; %bb.14:
	v_dual_mov_b32 v31, 0 :: v_dual_add_f32 v6, v5, v4
	s_delay_alu instid0(VALU_DEP_1) | instskip(NEXT) | instid1(VALU_DEP_1)
	v_lshlrev_b64_e32 v[0:1], 3, v[30:31]
	v_add_co_u32 v0, s0, s4, v0
	s_wait_alu 0xf1ff
	s_delay_alu instid0(VALU_DEP_2)
	v_add_co_ci_u32_e64 v1, s0, s5, v1, s0
	global_load_b64 v[2:3], v[0:1], off offset:16112
	ds_load_b32 v0, v12 offset:16132
	ds_load_b32 v1, v36 offset:4
	v_sub_f32_e32 v7, v4, v5
	s_wait_dscnt 0x0
	v_dual_add_f32 v9, v0, v1 :: v_dual_sub_f32 v0, v1, v0
	s_wait_loadcnt 0x0
	s_delay_alu instid0(VALU_DEP_1) | instskip(SKIP_3) | instid1(VALU_DEP_3)
	v_fma_f32 v1, v9, v3, v0
	v_fma_f32 v4, -v7, v3, v6
	v_fma_f32 v5, v9, v3, -v0
	v_fma_f32 v10, v7, v3, v6
	v_dual_fmac_f32 v1, v7, v2 :: v_dual_fmac_f32 v4, v2, v9
	s_delay_alu instid0(VALU_DEP_3) | instskip(NEXT) | instid1(VALU_DEP_3)
	v_fmac_f32_e32 v5, v7, v2
	v_fma_f32 v0, -v2, v9, v10
	v_dual_mov_b32 v2, v30 :: v_dual_mov_b32 v3, v31
	ds_store_b64 v12, v[4:5] offset:16128
.LBB0_15:
	s_wait_alu 0xfffe
	s_and_not1_saveexec_b32 s0, s1
	s_cbranch_execz .LBB0_17
; %bb.16:
	ds_load_b64 v[2:3], v46 offset:8064
	s_wait_dscnt 0x0
	v_dual_add_f32 v4, v2, v2 :: v_dual_mul_f32 v5, -2.0, v3
	v_mov_b32_e32 v2, 0
	v_mov_b32_e32 v3, 0
	ds_store_b64 v46, v[4:5] offset:8064
.LBB0_17:
	s_wait_alu 0xfffe
	s_or_b32 exec_lo, exec_lo, s0
	v_lshlrev_b64_e32 v[2:3], 3, v[2:3]
	s_add_nc_u64 s[0:1], s[4:5], 0x3ef0
	v_lshl_add_u32 v49, v30, 3, 0
	v_or_b32_e32 v45, 0x380, v30
	s_wait_alu 0xfffe
	s_delay_alu instid0(VALU_DEP_3)
	v_add_co_u32 v2, s0, s0, v2
	s_wait_alu 0xf1ff
	v_add_co_ci_u32_e64 v3, s0, s1, v3, s0
	v_cmp_gt_u32_e64 s0, 0x60, v30
	s_clause 0x6
	global_load_b64 v[4:5], v[2:3], off offset:896
	global_load_b64 v[6:7], v[2:3], off offset:1792
	;; [unrolled: 1-line block ×7, first 2 shown]
	ds_store_b64 v36, v[0:1]
	ds_load_b64 v[0:1], v36 offset:896
	ds_load_b64 v[21:22], v12 offset:15232
	global_load_b64 v[23:24], v[2:3], off offset:7168
	s_wait_dscnt 0x0
	v_dual_add_f32 v2, v0, v21 :: v_dual_add_nc_u32 v31, v49, v8
	v_add_f32_e32 v11, v22, v1
	v_dual_sub_f32 v21, v0, v21 :: v_dual_sub_f32 v0, v1, v22
	s_wait_loadcnt 0x7
	s_delay_alu instid0(VALU_DEP_1) | instskip(SKIP_1) | instid1(VALU_DEP_2)
	v_fma_f32 v1, v11, v5, v0
	v_fma_f32 v3, v11, v5, -v0
	v_fmac_f32_e32 v1, v21, v4
	v_fma_f32 v22, v21, v5, v2
	v_fma_f32 v2, -v21, v5, v2
	s_delay_alu instid0(VALU_DEP_4) | instskip(NEXT) | instid1(VALU_DEP_3)
	v_fmac_f32_e32 v3, v21, v4
	v_fma_f32 v0, -v4, v11, v22
	s_delay_alu instid0(VALU_DEP_3)
	v_fmac_f32_e32 v2, v4, v11
	ds_store_b64 v36, v[0:1] offset:896
	ds_store_b64 v12, v[2:3] offset:15232
	ds_load_b64 v[0:1], v36 offset:1792
	ds_load_b64 v[2:3], v12 offset:14336
	s_wait_dscnt 0x0
	v_dual_add_f32 v4, v0, v2 :: v_dual_add_f32 v5, v3, v1
	v_dual_sub_f32 v11, v0, v2 :: v_dual_sub_f32 v0, v1, v3
	s_wait_loadcnt 0x6
	s_delay_alu instid0(VALU_DEP_1) | instskip(NEXT) | instid1(VALU_DEP_2)
	v_fma_f32 v2, -v11, v7, v4
	v_fma_f32 v1, v5, v7, v0
	v_fma_f32 v3, v5, v7, -v0
	s_delay_alu instid0(VALU_DEP_3) | instskip(SKIP_1) | instid1(VALU_DEP_4)
	v_fmac_f32_e32 v2, v6, v5
	v_fma_f32 v21, v11, v7, v4
	v_fmac_f32_e32 v1, v11, v6
	s_delay_alu instid0(VALU_DEP_4) | instskip(NEXT) | instid1(VALU_DEP_3)
	v_fmac_f32_e32 v3, v11, v6
	v_fma_f32 v0, -v6, v5, v21
	ds_store_b64 v36, v[0:1] offset:1792
	ds_store_b64 v12, v[2:3] offset:14336
	ds_load_b64 v[0:1], v36 offset:2688
	ds_load_b64 v[2:3], v12 offset:13440
	s_wait_dscnt 0x0
	v_dual_add_f32 v4, v0, v2 :: v_dual_add_f32 v5, v3, v1
	v_sub_f32_e32 v6, v0, v2
	v_sub_f32_e32 v0, v1, v3
	s_wait_loadcnt 0x5
	s_delay_alu instid0(VALU_DEP_2) | instskip(NEXT) | instid1(VALU_DEP_2)
	v_fma_f32 v7, v6, v10, v4
	v_fma_f32 v1, v5, v10, v0
	v_fma_f32 v2, -v6, v10, v4
	s_delay_alu instid0(VALU_DEP_2) | instskip(SKIP_2) | instid1(VALU_DEP_4)
	v_fmac_f32_e32 v1, v6, v9
	v_fma_f32 v3, v5, v10, -v0
	v_fma_f32 v0, -v9, v5, v7
	v_fmac_f32_e32 v2, v9, v5
	s_delay_alu instid0(VALU_DEP_3)
	v_fmac_f32_e32 v3, v6, v9
	ds_store_b64 v36, v[0:1] offset:2688
	ds_store_b64 v12, v[2:3] offset:13440
	ds_load_b64 v[0:1], v36 offset:3584
	ds_load_b64 v[2:3], v12 offset:12544
	s_wait_dscnt 0x0
	v_dual_add_f32 v4, v0, v2 :: v_dual_add_f32 v5, v3, v1
	v_sub_f32_e32 v6, v0, v2
	v_sub_f32_e32 v0, v1, v3
	s_wait_loadcnt 0x4
	s_delay_alu instid0(VALU_DEP_2) | instskip(NEXT) | instid1(VALU_DEP_2)
	v_fma_f32 v7, v6, v14, v4
	v_fma_f32 v1, v5, v14, v0
	v_fma_f32 v2, -v6, v14, v4
	s_delay_alu instid0(VALU_DEP_2) | instskip(SKIP_2) | instid1(VALU_DEP_4)
	v_fmac_f32_e32 v1, v6, v13
	v_fma_f32 v3, v5, v14, -v0
	v_fma_f32 v0, -v13, v5, v7
	v_fmac_f32_e32 v2, v13, v5
	s_delay_alu instid0(VALU_DEP_3)
	v_fmac_f32_e32 v3, v6, v13
	ds_store_b64 v36, v[0:1] offset:3584
	ds_store_b64 v12, v[2:3] offset:12544
	ds_load_b64 v[0:1], v36 offset:4480
	ds_load_b64 v[2:3], v12 offset:11648
	s_wait_dscnt 0x0
	v_dual_add_f32 v4, v0, v2 :: v_dual_add_f32 v5, v3, v1
	v_sub_f32_e32 v6, v0, v2
	v_sub_f32_e32 v0, v1, v3
	s_wait_loadcnt 0x3
	s_delay_alu instid0(VALU_DEP_2) | instskip(NEXT) | instid1(VALU_DEP_2)
	v_fma_f32 v7, v6, v16, v4
	v_fma_f32 v1, v5, v16, v0
	v_fma_f32 v2, -v6, v16, v4
	v_fma_f32 v3, v5, v16, -v0
	s_delay_alu instid0(VALU_DEP_4) | instskip(NEXT) | instid1(VALU_DEP_3)
	v_fma_f32 v0, -v15, v5, v7
	v_dual_fmac_f32 v1, v6, v15 :: v_dual_fmac_f32 v2, v15, v5
	s_delay_alu instid0(VALU_DEP_3)
	v_fmac_f32_e32 v3, v6, v15
	ds_store_b64 v36, v[0:1] offset:4480
	ds_store_b64 v12, v[2:3] offset:11648
	ds_load_b64 v[0:1], v36 offset:5376
	ds_load_b64 v[2:3], v12 offset:10752
	s_wait_dscnt 0x0
	v_dual_add_f32 v4, v0, v2 :: v_dual_add_f32 v5, v3, v1
	v_sub_f32_e32 v6, v0, v2
	v_sub_f32_e32 v0, v1, v3
	s_wait_loadcnt 0x2
	s_delay_alu instid0(VALU_DEP_2) | instskip(NEXT) | instid1(VALU_DEP_2)
	v_fma_f32 v7, v6, v18, v4
	v_fma_f32 v3, v5, v18, -v0
	v_fma_f32 v2, -v6, v18, v4
	s_delay_alu instid0(VALU_DEP_2) | instskip(SKIP_2) | instid1(VALU_DEP_4)
	v_fmac_f32_e32 v3, v6, v17
	v_fma_f32 v1, v5, v18, v0
	v_fma_f32 v0, -v17, v5, v7
	v_dual_fmac_f32 v2, v17, v5 :: v_dual_add_nc_u32 v7, 0x70, v30
	s_delay_alu instid0(VALU_DEP_3)
	v_fmac_f32_e32 v1, v6, v17
	ds_store_b64 v36, v[0:1] offset:5376
	ds_store_b64 v12, v[2:3] offset:10752
	ds_load_b64 v[0:1], v36 offset:6272
	ds_load_b64 v[2:3], v12 offset:9856
	s_wait_dscnt 0x0
	v_dual_add_f32 v5, v3, v1 :: v_dual_sub_f32 v6, v0, v2
	v_add_f32_e32 v4, v0, v2
	v_sub_f32_e32 v0, v1, v3
	s_wait_loadcnt 0x1
	s_delay_alu instid0(VALU_DEP_1) | instskip(SKIP_1) | instid1(VALU_DEP_2)
	v_fma_f32 v1, v5, v20, v0
	v_fma_f32 v3, v5, v20, -v0
	v_fmac_f32_e32 v1, v6, v19
	v_fma_f32 v9, v6, v20, v4
	v_fma_f32 v2, -v6, v20, v4
	s_delay_alu instid0(VALU_DEP_4) | instskip(NEXT) | instid1(VALU_DEP_3)
	v_fmac_f32_e32 v3, v6, v19
	v_fma_f32 v0, -v19, v5, v9
	s_delay_alu instid0(VALU_DEP_3)
	v_fmac_f32_e32 v2, v19, v5
	ds_store_b64 v36, v[0:1] offset:6272
	ds_store_b64 v12, v[2:3] offset:9856
	ds_load_b64 v[0:1], v36 offset:7168
	ds_load_b64 v[10:11], v12 offset:8960
	v_add_nc_u32_e32 v3, 0x230, v30
	v_add_nc_u32_e32 v48, 0xe0, v30
	;; [unrolled: 1-line block ×3, first 2 shown]
	v_lshlrev_b32_e32 v17, 4, v7
	v_add_nc_u32_e32 v9, 0x1c00, v31
	s_wait_dscnt 0x0
	v_dual_add_f32 v5, v0, v10 :: v_dual_lshlrev_b32 v28, 4, v3
	v_add_f32_e32 v20, v11, v1
	v_dual_sub_f32 v10, v0, v10 :: v_dual_sub_f32 v11, v1, v11
	v_add_nc_u32_e32 v0, 0x800, v31
	v_add3_u32 v65, 0, v17, v8
	v_add3_u32 v69, 0, v28, v8
	s_wait_loadcnt 0x0
	v_fma_f32 v13, v10, v24, v5
	v_fma_f32 v14, v20, v24, v11
	v_fma_f32 v15, -v10, v24, v5
	v_add_nc_u32_e32 v6, 0x150, v30
	v_fma_f32 v16, v20, v24, -v11
	s_delay_alu instid0(VALU_DEP_4) | instskip(SKIP_2) | instid1(VALU_DEP_4)
	v_dual_fmac_f32 v14, v10, v23 :: v_dual_lshlrev_b32 v19, 4, v48
	v_fma_f32 v13, -v23, v20, v13
	v_fmac_f32_e32 v15, v23, v20
	v_dual_fmac_f32 v16, v10, v23 :: v_dual_lshlrev_b32 v25, 4, v6
	ds_store_b64 v36, v[13:14] offset:7168
	ds_store_b64 v12, v[15:16] offset:8960
	global_wb scope:SCOPE_SE
	s_wait_dscnt 0x0
	s_barrier_signal -1
	s_barrier_wait -1
	global_inv scope:SCOPE_SE
	global_wb scope:SCOPE_SE
	s_barrier_signal -1
	s_barrier_wait -1
	global_inv scope:SCOPE_SE
	ds_load_2addr_b64 v[12:15], v9 offset0:112 offset1:224
	ds_load_b64 v[16:17], v36
	ds_load_2addr_b64 v[37:40], v0 offset0:80 offset1:192
	v_add_nc_u32_e32 v1, 0x2c00, v31
	v_add_nc_u32_e32 v10, 0x3400, v31
	v_add3_u32 v66, 0, v19, v8
	ds_load_2addr_b64 v[19:22], v31 offset0:112 offset1:224
	v_add_nc_u32_e32 v18, 0x2a0, v30
	ds_load_2addr_b64 v[41:44], v1 offset0:48 offset1:160
	v_add_nc_u32_e32 v5, 0x1000, v31
	ds_load_2addr_b64 v[54:57], v10 offset0:16 offset1:128
	v_lshlrev_b32_e32 v2, 4, v30
	v_add_nc_u32_e32 v4, 0x1c0, v30
	v_lshlrev_b32_e32 v35, 4, v29
	ds_load_2addr_b64 v[50:53], v5 offset0:48 offset1:160
	v_lshlrev_b32_e32 v58, 4, v45
	v_add3_u32 v63, 0, v2, v8
	v_add_nc_u32_e32 v2, 0x2400, v31
	v_add_nc_u32_e32 v11, 0x1800, v31
	v_add3_u32 v67, 0, v25, v8
	s_wait_dscnt 0x5
	v_sub_f32_e32 v13, v17, v13
	v_lshlrev_b32_e32 v27, 4, v4
	v_sub_f32_e32 v12, v16, v12
	v_add3_u32 v71, 0, v35, v8
	s_wait_dscnt 0x3
	v_dual_sub_f32 v14, v19, v14 :: v_dual_sub_f32 v15, v20, v15
	v_lshlrev_b32_e32 v34, 4, v18
	v_add3_u32 v68, 0, v27, v8
	s_wait_dscnt 0x2
	v_sub_f32_e32 v35, v40, v42
	v_add3_u32 v72, 0, v58, v8
	v_fma_f32 v16, v16, 2.0, -v12
	v_add3_u32 v70, 0, v34, v8
	s_wait_dscnt 0x0
	v_dual_sub_f32 v34, v39, v41 :: v_dual_sub_f32 v41, v50, v43
	v_sub_f32_e32 v43, v52, v54
	ds_load_2addr_b64 v[23:26], v2 offset0:80 offset1:192
	v_sub_f32_e32 v42, v51, v44
	ds_load_2addr_b64 v[58:61], v11 offset0:16 offset1:128
	ds_load_b64 v[27:28], v31 offset:15232
	v_and_b32_e32 v62, 1, v30
	v_sub_f32_e32 v44, v53, v55
	v_fma_f32 v17, v17, 2.0, -v13
	v_fma_f32 v19, v19, 2.0, -v14
	;; [unrolled: 1-line block ×5, first 2 shown]
	global_wb scope:SCOPE_SE
	s_wait_dscnt 0x0
	s_barrier_signal -1
	s_barrier_wait -1
	global_inv scope:SCOPE_SE
	v_fma_f32 v50, v50, 2.0, -v41
	v_fma_f32 v51, v51, 2.0, -v42
	;; [unrolled: 1-line block ×4, first 2 shown]
	v_dual_sub_f32 v23, v21, v23 :: v_dual_sub_f32 v24, v22, v24
	v_dual_sub_f32 v25, v37, v25 :: v_dual_sub_f32 v26, v38, v26
	v_dual_sub_f32 v55, v59, v57 :: v_dual_lshlrev_b32 v64, 3, v62
	v_dual_sub_f32 v54, v58, v56 :: v_dual_sub_f32 v27, v60, v27
	v_sub_f32_e32 v28, v61, v28
	v_fma_f32 v21, v21, 2.0, -v23
	v_fma_f32 v22, v22, 2.0, -v24
	;; [unrolled: 1-line block ×8, first 2 shown]
	ds_store_2addr_b64 v63, v[16:17], v[12:13] offset1:1
	ds_store_2addr_b64 v65, v[19:20], v[14:15] offset1:1
	;; [unrolled: 1-line block ×9, first 2 shown]
	v_lshlrev_b32_e32 v13, 1, v7
	global_wb scope:SCOPE_SE
	s_wait_dscnt 0x0
	s_barrier_signal -1
	s_barrier_wait -1
	global_inv scope:SCOPE_SE
	global_load_b64 v[34:35], v64, s[4:5]
	v_lshlrev_b32_e32 v16, 1, v4
	v_lshlrev_b32_e32 v17, 1, v3
	;; [unrolled: 1-line block ×5, first 2 shown]
	v_and_or_b32 v25, 0x7fc, v16, v62
	v_and_or_b32 v26, 0x5fc, v17, v62
	;; [unrolled: 1-line block ×5, first 2 shown]
	v_lshlrev_b32_e32 v25, 3, v25
	v_lshlrev_b32_e32 v26, 3, v26
	;; [unrolled: 1-line block ×5, first 2 shown]
	v_add3_u32 v74, 0, v25, v8
	v_add3_u32 v75, 0, v26, v8
	ds_load_2addr_b64 v[25:28], v2 offset0:80 offset1:192
	v_lshlrev_b32_e32 v12, 1, v30
	v_lshlrev_b32_e32 v14, 1, v48
	v_and_or_b32 v24, 0x3fc, v15, v62
	v_and_or_b32 v37, 0x7fc, v20, v62
	v_add3_u32 v76, 0, v39, v8
	s_delay_alu instid0(VALU_DEP_3) | instskip(NEXT) | instid1(VALU_DEP_3)
	v_lshlrev_b32_e32 v38, 3, v24
	v_lshlrev_b32_e32 v37, 3, v37
	s_delay_alu instid0(VALU_DEP_1)
	v_add3_u32 v78, 0, v37, v8
	s_wait_loadcnt_dscnt 0x0
	v_mul_f32_e32 v85, v35, v28
	v_and_or_b32 v21, 0xfc, v12, v62
	v_mul_f32_e32 v83, v35, v26
	v_and_or_b32 v23, 0x3fc, v14, v62
	v_mul_f32_e32 v86, v35, v27
	v_mul_f32_e32 v84, v35, v25
	v_lshlrev_b32_e32 v21, 3, v21
	v_fmac_f32_e32 v83, v34, v25
	v_add3_u32 v77, 0, v40, v8
	v_fma_f32 v28, v34, v28, -v86
	v_fma_f32 v26, v34, v26, -v84
	v_add3_u32 v45, 0, v21, v8
	v_lshlrev_b32_e32 v21, 3, v22
	v_lshlrev_b32_e32 v22, 3, v23
	s_delay_alu instid0(VALU_DEP_2) | instskip(NEXT) | instid1(VALU_DEP_2)
	v_add3_u32 v71, 0, v21, v8
	v_add3_u32 v72, 0, v22, v8
	ds_load_2addr_b64 v[21:24], v9 offset0:112 offset1:224
	s_wait_dscnt 0x0
	v_mul_f32_e32 v81, v35, v24
	v_mul_f32_e32 v79, v35, v22
	;; [unrolled: 1-line block ×4, first 2 shown]
	s_delay_alu instid0(VALU_DEP_4) | instskip(NEXT) | instid1(VALU_DEP_4)
	v_fmac_f32_e32 v81, v34, v23
	v_fmac_f32_e32 v79, v34, v21
	v_add3_u32 v73, 0, v38, v8
	ds_load_2addr_b64 v[37:40], v1 offset0:48 offset1:160
	ds_load_2addr_b64 v[41:44], v31 offset0:112 offset1:224
	;; [unrolled: 1-line block ×6, first 2 shown]
	ds_load_b64 v[66:67], v36
	ds_load_b64 v[68:69], v31 offset:15232
	v_and_b32_e32 v70, 3, v30
	v_fma_f32 v22, v34, v22, -v80
	v_fma_f32 v24, v34, v24, -v82
	v_fmac_f32_e32 v85, v34, v27
	global_wb scope:SCOPE_SE
	s_wait_dscnt 0x0
	s_barrier_signal -1
	s_barrier_wait -1
	global_inv scope:SCOPE_SE
	v_mul_f32_e32 v89, v35, v40
	v_lshlrev_b32_e32 v29, 3, v70
	v_mul_f32_e32 v87, v35, v38
	v_mul_f32_e32 v88, v35, v37
	;; [unrolled: 1-line block ×6, first 2 shown]
	v_dual_mul_f32 v94, v60, v35 :: v_dual_fmac_f32 v87, v34, v37
	s_delay_alu instid0(VALU_DEP_4)
	v_dual_mul_f32 v80, v69, v35 :: v_dual_fmac_f32 v91, v58, v34
	v_mul_f32_e32 v21, v68, v35
	v_fma_f32 v35, v34, v38, -v88
	v_dual_fmac_f32 v89, v34, v39 :: v_dual_sub_f32 v26, v44, v26
	v_fma_f32 v38, v34, v40, -v90
	v_fma_f32 v40, v59, v34, -v92
	v_dual_fmac_f32 v93, v60, v34 :: v_dual_sub_f32 v24, v42, v24
	v_fma_f32 v59, v61, v34, -v94
	v_fmac_f32_e32 v80, v68, v34
	v_fma_f32 v61, v69, v34, -v21
	v_dual_sub_f32 v21, v66, v79 :: v_dual_sub_f32 v28, v51, v28
	v_dual_sub_f32 v22, v67, v22 :: v_dual_sub_f32 v23, v41, v81
	v_sub_f32_e32 v34, v52, v87
	v_dual_sub_f32 v25, v43, v83 :: v_dual_sub_f32 v40, v57, v40
	v_dual_sub_f32 v27, v50, v85 :: v_dual_sub_f32 v38, v55, v38
	;; [unrolled: 1-line block ×4, first 2 shown]
	v_sub_f32_e32 v39, v56, v91
	v_sub_f32_e32 v59, v63, v59
	;; [unrolled: 1-line block ×3, first 2 shown]
	v_fma_f32 v66, v66, 2.0, -v21
	v_fma_f32 v67, v67, 2.0, -v22
	;; [unrolled: 1-line block ×18, first 2 shown]
	ds_store_2addr_b64 v45, v[66:67], v[21:22] offset1:2
	ds_store_2addr_b64 v71, v[41:42], v[23:24] offset1:2
	;; [unrolled: 1-line block ×9, first 2 shown]
	global_wb scope:SCOPE_SE
	s_wait_dscnt 0x0
	s_barrier_signal -1
	s_barrier_wait -1
	global_inv scope:SCOPE_SE
	global_load_b64 v[34:35], v29, s[4:5] offset:16
	v_and_or_b32 v25, 0x7f8, v16, v70
	v_and_or_b32 v26, 0x5f8, v17, v70
	;; [unrolled: 1-line block ×5, first 2 shown]
	v_lshlrev_b32_e32 v25, 3, v25
	v_lshlrev_b32_e32 v26, 3, v26
	;; [unrolled: 1-line block ×4, first 2 shown]
	v_and_or_b32 v22, 0x1f8, v13, v70
	v_add3_u32 v74, 0, v25, v8
	v_add3_u32 v75, 0, v26, v8
	ds_load_2addr_b64 v[25:28], v2 offset0:80 offset1:192
	v_lshlrev_b32_e32 v21, 3, v21
	v_and_or_b32 v23, 0x3f8, v14, v70
	v_and_or_b32 v24, 0x3f8, v15, v70
	;; [unrolled: 1-line block ×3, first 2 shown]
	v_add3_u32 v76, 0, v39, v8
	s_delay_alu instid0(VALU_DEP_3) | instskip(NEXT) | instid1(VALU_DEP_3)
	v_lshlrev_b32_e32 v38, 3, v24
	v_lshlrev_b32_e32 v37, 3, v37
	s_delay_alu instid0(VALU_DEP_2) | instskip(NEXT) | instid1(VALU_DEP_2)
	v_add3_u32 v73, 0, v38, v8
	v_add3_u32 v78, 0, v37, v8
	s_wait_loadcnt_dscnt 0x0
	v_mul_f32_e32 v86, v35, v27
	v_add3_u32 v70, 0, v21, v8
	v_dual_mul_f32 v84, v35, v25 :: v_dual_lshlrev_b32 v21, 3, v22
	v_lshlrev_b32_e32 v22, 3, v23
	s_delay_alu instid0(VALU_DEP_2) | instskip(NEXT) | instid1(VALU_DEP_2)
	v_add3_u32 v71, 0, v21, v8
	v_add3_u32 v72, 0, v22, v8
	ds_load_2addr_b64 v[21:24], v9 offset0:112 offset1:224
	s_wait_dscnt 0x0
	v_dual_mul_f32 v80, v35, v21 :: v_dual_and_b32 v29, 7, v30
	v_mul_f32_e32 v79, v35, v22
	v_add3_u32 v77, 0, v40, v8
	ds_load_2addr_b64 v[37:40], v1 offset0:48 offset1:160
	ds_load_2addr_b64 v[41:44], v31 offset0:112 offset1:224
	;; [unrolled: 1-line block ×6, first 2 shown]
	ds_load_b64 v[66:67], v36
	ds_load_b64 v[68:69], v31 offset:15232
	v_dual_mul_f32 v82, v35, v23 :: v_dual_lshlrev_b32 v45, 3, v29
	v_fma_f32 v22, v34, v22, -v80
	v_mul_f32_e32 v81, v35, v24
	v_mul_f32_e32 v83, v35, v26
	v_fma_f32 v26, v34, v26, -v84
	v_fma_f32 v24, v34, v24, -v82
	global_wb scope:SCOPE_SE
	s_wait_dscnt 0x0
	s_barrier_signal -1
	s_barrier_wait -1
	global_inv scope:SCOPE_SE
	v_mul_f32_e32 v88, v35, v37
	v_mul_f32_e32 v90, v35, v39
	v_dual_mul_f32 v87, v35, v38 :: v_dual_sub_f32 v24, v42, v24
	v_dual_mul_f32 v92, v35, v58 :: v_dual_mul_f32 v93, v61, v35
	v_sub_f32_e32 v22, v67, v22
	v_dual_mul_f32 v80, v69, v35 :: v_dual_mul_f32 v85, v35, v28
	v_dual_mul_f32 v89, v35, v40 :: v_dual_sub_f32 v26, v44, v26
	v_mul_f32_e32 v91, v35, v59
	v_mul_f32_e32 v94, v60, v35
	v_fma_f32 v28, v34, v28, -v86
	v_fmac_f32_e32 v79, v34, v21
	v_fmac_f32_e32 v93, v60, v34
	v_mul_f32_e32 v21, v68, v35
	v_fma_f32 v35, v34, v38, -v88
	v_fma_f32 v38, v34, v40, -v90
	;; [unrolled: 1-line block ×3, first 2 shown]
	v_fmac_f32_e32 v81, v34, v23
	v_fmac_f32_e32 v87, v34, v37
	v_dual_fmac_f32 v83, v34, v25 :: v_dual_fmac_f32 v80, v68, v34
	v_fmac_f32_e32 v85, v34, v27
	v_fmac_f32_e32 v89, v34, v39
	v_fma_f32 v59, v61, v34, -v94
	v_sub_f32_e32 v28, v51, v28
	v_dual_sub_f32 v40, v57, v40 :: v_dual_fmac_f32 v91, v34, v58
	v_sub_f32_e32 v58, v62, v93
	v_fma_f32 v61, v69, v34, -v21
	v_dual_sub_f32 v21, v66, v79 :: v_dual_sub_f32 v38, v55, v38
	v_dual_sub_f32 v23, v41, v81 :: v_dual_sub_f32 v34, v52, v87
	;; [unrolled: 1-line block ×3, first 2 shown]
	v_sub_f32_e32 v27, v50, v85
	v_sub_f32_e32 v35, v53, v35
	;; [unrolled: 1-line block ×6, first 2 shown]
	v_fma_f32 v66, v66, 2.0, -v21
	v_fma_f32 v67, v67, 2.0, -v22
	;; [unrolled: 1-line block ×18, first 2 shown]
	ds_store_2addr_b64 v70, v[66:67], v[21:22] offset1:4
	ds_store_2addr_b64 v71, v[41:42], v[23:24] offset1:4
	;; [unrolled: 1-line block ×9, first 2 shown]
	global_wb scope:SCOPE_SE
	s_wait_dscnt 0x0
	s_barrier_signal -1
	s_barrier_wait -1
	global_inv scope:SCOPE_SE
	global_load_b64 v[34:35], v45, s[4:5] offset:48
	v_and_or_b32 v25, 0x7f0, v16, v29
	v_and_or_b32 v26, 0x5f0, v17, v29
	;; [unrolled: 1-line block ×5, first 2 shown]
	v_lshlrev_b32_e32 v25, 3, v25
	v_lshlrev_b32_e32 v26, 3, v26
	v_lshlrev_b32_e32 v38, 3, v27
	v_lshlrev_b32_e32 v39, 3, v28
	v_lshlrev_b32_e32 v21, 3, v21
	v_add3_u32 v75, 0, v25, v8
	v_add3_u32 v76, 0, v26, v8
	ds_load_2addr_b64 v[25:28], v2 offset0:80 offset1:192
	v_and_or_b32 v22, 0x1f0, v13, v29
	v_and_or_b32 v23, 0x3f0, v14, v29
	v_and_or_b32 v24, 0x3f0, v15, v29
	v_add3_u32 v71, 0, v21, v8
	v_add3_u32 v77, 0, v38, v8
	v_lshlrev_b32_e32 v21, 3, v22
	v_lshlrev_b32_e32 v22, 3, v23
	v_add3_u32 v78, 0, v39, v8
	v_and_or_b32 v29, 0x7f0, v20, v29
	s_delay_alu instid0(VALU_DEP_4) | instskip(NEXT) | instid1(VALU_DEP_4)
	v_add3_u32 v72, 0, v21, v8
	v_add3_u32 v73, 0, v22, v8
	s_wait_loadcnt_dscnt 0x0
	v_mul_f32_e32 v84, v35, v25
	v_mul_f32_e32 v83, v35, v26
	;; [unrolled: 1-line block ×4, first 2 shown]
	s_delay_alu instid0(VALU_DEP_4)
	v_fma_f32 v26, v34, v26, -v84
	v_lshlrev_b32_e32 v37, 3, v24
	ds_load_2addr_b64 v[21:24], v9 offset0:112 offset1:224
	v_fmac_f32_e32 v85, v34, v27
	v_fma_f32 v28, v34, v28, -v86
	v_add3_u32 v74, 0, v37, v8
	ds_load_2addr_b64 v[37:40], v1 offset0:48 offset1:160
	ds_load_2addr_b64 v[41:44], v31 offset0:112 offset1:224
	ds_load_2addr_b64 v[50:53], v0 offset0:80 offset1:192
	ds_load_2addr_b64 v[54:57], v5 offset0:48 offset1:160
	ds_load_2addr_b64 v[58:61], v10 offset0:16 offset1:128
	ds_load_2addr_b64 v[62:65], v11 offset0:16 offset1:128
	ds_load_b64 v[66:67], v36
	ds_load_b64 v[68:69], v31 offset:15232
	v_and_b32_e32 v45, 15, v30
	global_wb scope:SCOPE_SE
	s_wait_dscnt 0x0
	s_barrier_signal -1
	s_barrier_wait -1
	global_inv scope:SCOPE_SE
	v_mul_f32_e32 v88, v35, v37
	v_and_or_b32 v14, 0x3e0, v14, v45
	v_mul_f32_e32 v80, v35, v21
	v_mul_f32_e32 v79, v35, v22
	;; [unrolled: 1-line block ×4, first 2 shown]
	v_lshlrev_b32_e32 v14, 3, v14
	v_fma_f32 v22, v34, v22, -v80
	v_mul_f32_e32 v80, v69, v35
	v_mul_f32_e32 v91, v35, v59
	v_fmac_f32_e32 v93, v60, v34
	v_mul_f32_e32 v81, v35, v24
	v_mul_f32_e32 v87, v35, v38
	v_dual_fmac_f32 v80, v68, v34 :: v_dual_mul_f32 v89, v35, v40
	v_mul_f32_e32 v90, v35, v39
	v_mul_f32_e32 v92, v35, v58
	v_mul_f32_e32 v94, v60, v35
	v_and_or_b32 v15, 0x3e0, v15, v45
	v_fmac_f32_e32 v79, v34, v21
	v_and_or_b32 v20, 0x7e0, v20, v45
	v_mul_f32_e32 v21, v68, v35
	v_fma_f32 v24, v34, v24, -v82
	v_fmac_f32_e32 v91, v34, v58
	v_sub_f32_e32 v58, v62, v93
	v_and_or_b32 v18, 0x7e0, v18, v45
	v_dual_fmac_f32 v81, v34, v23 :: v_dual_sub_f32 v60, v64, v80
	v_fmac_f32_e32 v83, v34, v25
	v_fmac_f32_e32 v87, v34, v37
	v_fma_f32 v35, v34, v38, -v88
	v_fmac_f32_e32 v89, v34, v39
	v_fma_f32 v38, v34, v40, -v90
	v_fma_f32 v40, v34, v59, -v92
	;; [unrolled: 1-line block ×4, first 2 shown]
	v_dual_sub_f32 v21, v66, v79 :: v_dual_sub_f32 v22, v67, v22
	v_dual_sub_f32 v23, v41, v81 :: v_dual_sub_f32 v24, v42, v24
	;; [unrolled: 1-line block ×4, first 2 shown]
	v_sub_f32_e32 v34, v52, v87
	v_dual_sub_f32 v35, v53, v35 :: v_dual_lshlrev_b32 v70, 3, v45
	v_dual_sub_f32 v38, v55, v38 :: v_dual_lshlrev_b32 v29, 3, v29
	v_sub_f32_e32 v37, v54, v89
	v_dual_sub_f32 v39, v56, v91 :: v_dual_sub_f32 v40, v57, v40
	v_sub_f32_e32 v59, v63, v59
	v_sub_f32_e32 v61, v65, v61
	v_fma_f32 v66, v66, 2.0, -v21
	v_fma_f32 v67, v67, 2.0, -v22
	v_fma_f32 v41, v41, 2.0, -v23
	v_fma_f32 v42, v42, 2.0, -v24
	v_fma_f32 v43, v43, 2.0, -v25
	v_fma_f32 v44, v44, 2.0, -v26
	v_fma_f32 v50, v50, 2.0, -v27
	v_fma_f32 v51, v51, 2.0, -v28
	v_fma_f32 v52, v52, 2.0, -v34
	v_fma_f32 v53, v53, 2.0, -v35
	v_add3_u32 v29, 0, v29, v8
	v_fma_f32 v54, v54, 2.0, -v37
	v_fma_f32 v55, v55, 2.0, -v38
	;; [unrolled: 1-line block ×8, first 2 shown]
	ds_store_2addr_b64 v71, v[66:67], v[21:22] offset1:8
	ds_store_2addr_b64 v72, v[41:42], v[23:24] offset1:8
	;; [unrolled: 1-line block ×9, first 2 shown]
	global_wb scope:SCOPE_SE
	s_wait_dscnt 0x0
	s_barrier_signal -1
	s_barrier_wait -1
	global_inv scope:SCOPE_SE
	global_load_b64 v[34:35], v70, s[4:5] offset:112
	v_and_or_b32 v22, 0xe0, v12, v45
	v_and_or_b32 v13, 0x1e0, v13, v45
	;; [unrolled: 1-line block ×5, first 2 shown]
	v_lshlrev_b32_e32 v22, 3, v22
	v_lshlrev_b32_e32 v13, 3, v13
	v_lshlrev_b32_e32 v23, 3, v16
	v_lshlrev_b32_e32 v17, 3, v17
	v_lshlrev_b32_e32 v24, 3, v18
	v_add3_u32 v64, 0, v22, v8
	v_lshlrev_b32_e32 v22, 3, v15
	v_lshlrev_b32_e32 v25, 3, v19
	;; [unrolled: 1-line block ×3, first 2 shown]
	v_add3_u32 v65, 0, v13, v8
	v_add3_u32 v67, 0, v14, v8
	ds_load_2addr_b64 v[13:16], v9 offset0:112 offset1:224
	v_add3_u32 v68, 0, v22, v8
	v_add3_u32 v69, 0, v23, v8
	v_add3_u32 v70, 0, v17, v8
	ds_load_2addr_b64 v[17:20], v2 offset0:80 offset1:192
	v_add3_u32 v71, 0, v24, v8
	v_add3_u32 v72, 0, v25, v8
	;; [unrolled: 1-line block ×3, first 2 shown]
	ds_load_2addr_b64 v[22:25], v1 offset0:48 offset1:160
	ds_load_2addr_b64 v[26:29], v31 offset0:112 offset1:224
	;; [unrolled: 1-line block ×6, first 2 shown]
	ds_load_b64 v[58:59], v36
	ds_load_b64 v[60:61], v31 offset:15232
	v_and_b32_e32 v12, 31, v3
	v_and_b32_e32 v66, 31, v6
	global_wb scope:SCOPE_SE
	s_wait_loadcnt_dscnt 0x0
	s_barrier_signal -1
	s_barrier_wait -1
	global_inv scope:SCOPE_SE
	v_mul_f32_e32 v84, v35, v25
	v_mul_f32_e32 v82, v35, v23
	;; [unrolled: 1-line block ×3, first 2 shown]
	v_dual_mul_f32 v87, v35, v50 :: v_dual_mul_f32 v88, v53, v35
	v_mul_f32_e32 v90, v61, v35
	v_mul_f32_e32 v74, v35, v14
	v_dual_fmac_f32 v84, v34, v24 :: v_dual_mul_f32 v75, v35, v13
	v_dual_fmac_f32 v86, v34, v50 :: v_dual_lshlrev_b32 v45, 4, v12
	v_mul_f32_e32 v76, v35, v16
	v_mul_f32_e32 v78, v35, v18
	;; [unrolled: 1-line block ×5, first 2 shown]
	v_dual_mul_f32 v85, v35, v24 :: v_dual_fmac_f32 v82, v34, v22
	v_mul_f32_e32 v89, v52, v35
	v_fma_f32 v50, v34, v51, -v87
	v_dual_fmac_f32 v88, v52, v34 :: v_dual_mul_f32 v77, v35, v15
	v_dual_fmac_f32 v90, v60, v34 :: v_dual_mul_f32 v79, v35, v17
	v_dual_mul_f32 v35, v60, v35 :: v_dual_fmac_f32 v74, v34, v13
	v_sub_f32_e32 v24, v41, v84
	v_fma_f32 v14, v34, v14, -v75
	v_fmac_f32_e32 v76, v34, v15
	v_sub_f32_e32 v22, v39, v82
	v_fma_f32 v51, v53, v34, -v89
	v_fma_f32 v53, v61, v34, -v35
	v_dual_sub_f32 v35, v44, v50 :: v_dual_sub_f32 v50, v54, v88
	v_fma_f32 v16, v34, v16, -v77
	v_fmac_f32_e32 v78, v34, v17
	v_sub_f32_e32 v52, v56, v90
	v_fma_f32 v18, v34, v18, -v79
	v_dual_fmac_f32 v80, v34, v19 :: v_dual_and_b32 v21, 31, v30
	v_fma_f32 v20, v34, v20, -v81
	v_fma_f32 v23, v34, v23, -v83
	;; [unrolled: 1-line block ×3, first 2 shown]
	v_sub_f32_e32 v13, v58, v74
	v_sub_f32_e32 v14, v59, v14
	v_dual_sub_f32 v16, v27, v16 :: v_dual_lshlrev_b32 v63, 4, v66
	v_sub_f32_e32 v15, v26, v76
	v_sub_f32_e32 v17, v28, v78
	v_sub_f32_e32 v18, v29, v18
	v_sub_f32_e32 v19, v37, v80
	v_dual_sub_f32 v20, v38, v20 :: v_dual_sub_f32 v23, v40, v23
	v_dual_sub_f32 v25, v42, v25 :: v_dual_sub_f32 v34, v43, v86
	v_sub_f32_e32 v51, v55, v51
	v_sub_f32_e32 v53, v57, v53
	v_fma_f32 v58, v58, 2.0, -v13
	v_fma_f32 v59, v59, 2.0, -v14
	v_lshlrev_b32_e32 v62, 4, v21
	v_fma_f32 v26, v26, 2.0, -v15
	v_fma_f32 v27, v27, 2.0, -v16
	;; [unrolled: 1-line block ×16, first 2 shown]
	ds_store_2addr_b64 v64, v[58:59], v[13:14] offset1:16
	ds_store_2addr_b64 v65, v[26:27], v[15:16] offset1:16
	;; [unrolled: 1-line block ×9, first 2 shown]
	global_wb scope:SCOPE_SE
	s_wait_dscnt 0x0
	s_barrier_signal -1
	s_barrier_wait -1
	global_inv scope:SCOPE_SE
	s_clause 0x4
	global_load_b64 v[34:35], v45, s[4:5] offset:248
	global_load_b128 v[13:16], v62, s[4:5] offset:240
	global_load_b128 v[17:20], v63, s[4:5] offset:240
	global_load_b64 v[62:63], v45, s[4:5] offset:244
	global_load_b64 v[64:65], v45, s[4:5] offset:240
	v_and_b32_e32 v24, 31, v7
	v_add_nc_u32_e32 v25, 0xffffffa0, v30
	v_lshrrev_b32_e32 v26, 5, v7
	v_lshrrev_b32_e32 v27, 5, v48
	;; [unrolled: 1-line block ×3, first 2 shown]
	v_lshlrev_b32_e32 v22, 4, v24
	s_clause 0x1
	global_load_b32 v29, v22, s[4:5] offset:240
	global_load_b32 v45, v45, s[4:5] offset:252
	v_lshrrev_b32_e32 v22, 5, v30
	v_lshrrev_b32_e32 v37, 5, v4
	s_wait_alu 0xf1ff
	v_cndmask_b32_e64 v74, v25, v30, s0
	v_and_b32_e32 v25, 0xff, v7
	v_and_b32_e32 v39, 0xffff, v48
	v_mul_u32_u24_e32 v22, 0x60, v22
	v_mul_u32_u24_e32 v26, 0x60, v26
	;; [unrolled: 1-line block ×5, first 2 shown]
	v_mul_lo_u16 v25, 0xab, v25
	v_mul_u32_u24_e32 v39, 0xaaab, v39
	v_mov_b32_e32 v23, 0
	v_lshrrev_b32_e32 v38, 5, v3
	v_or_b32_e32 v43, v22, v21
	v_lshlrev_b32_e32 v22, 1, v74
	v_or_b32_e32 v24, v26, v24
	v_or_b32_e32 v26, v27, v21
	;; [unrolled: 1-line block ×4, first 2 shown]
	v_lshrrev_b16 v76, 14, v25
	v_lshrrev_b32_e32 v77, 22, v39
	v_mul_u32_u24_e32 v38, 0x60, v38
	v_lshlrev_b64_e32 v[21:22], 3, v[22:23]
	v_lshlrev_b32_e32 v23, 3, v24
	v_lshlrev_b32_e32 v24, 3, v26
	;; [unrolled: 1-line block ×4, first 2 shown]
	v_mul_lo_u16 v27, 0x60, v76
	v_mul_lo_u16 v28, 0x60, v77
	v_or_b32_e32 v12, v38, v12
	v_add3_u32 v84, 0, v25, v8
	v_add3_u32 v85, 0, v26, v8
	v_sub_nc_u16 v7, v7, v27
	v_sub_nc_u16 v38, v48, v28
	ds_load_2addr_b64 v[25:28], v9 offset0:112 offset1:224
	v_add_co_u32 v66, s0, s4, v21
	s_wait_alu 0xf1ff
	v_add_co_ci_u32_e64 v67, s0, s5, v22, s0
	v_add3_u32 v82, 0, v23, v8
	v_add3_u32 v83, 0, v24, v8
	ds_load_2addr_b64 v[21:24], v1 offset0:48 offset1:160
	v_and_b32_e32 v40, 0xffff, v6
	v_and_b32_e32 v41, 0xffff, v4
	v_and_b32_e32 v42, 0xffff, v3
	v_lshlrev_b32_e32 v12, 3, v12
	v_and_b32_e32 v86, 0xff, v7
	v_mul_u32_u24_e32 v40, 0xaaab, v40
	v_cmp_lt_u32_e64 s0, 0x5f, v30
	v_mul_u32_u24_e32 v75, 0xaaab, v42
	v_lshlrev_b32_e32 v42, 3, v43
	v_add3_u32 v87, 0, v12, v8
	v_lshrrev_b32_e32 v78, 22, v40
	v_lshlrev_b32_e32 v90, 4, v86
	s_delay_alu instid0(VALU_DEP_4) | instskip(NEXT) | instid1(VALU_DEP_3)
	v_add3_u32 v80, 0, v42, v8
	v_mul_lo_u16 v37, 0x60, v78
	s_delay_alu instid0(VALU_DEP_1)
	v_sub_nc_u16 v88, v6, v37
	s_wait_loadcnt_dscnt 0x600
	v_mul_f32_e32 v12, v35, v22
	v_mul_f32_e32 v35, v35, v21
	s_wait_loadcnt 0x4
	v_mul_f32_e32 v93, v26, v18
	v_mul_f32_e32 v18, v25, v18
	;; [unrolled: 1-line block ×3, first 2 shown]
	s_wait_loadcnt 0x3
	v_dual_mul_f32 v91, v24, v16 :: v_dual_fmac_f32 v12, v63, v21
	v_fmac_f32_e32 v93, v25, v17
	v_fma_f32 v17, v26, v17, -v18
	v_mul_f32_e32 v18, v27, v14
	v_mul_u32_u24_e32 v41, 0xaaab, v41
	v_fma_f32 v21, v63, v22, -v35
	v_fma_f32 v22, v24, v15, -v92
	v_mul_f32_e32 v24, v28, v14
	v_and_b32_e32 v89, 0xffff, v38
	v_lshrrev_b32_e32 v79, 22, v41
	ds_load_2addr_b64 v[37:40], v5 offset0:48 offset1:160
	ds_load_2addr_b64 v[41:44], v2 offset0:80 offset1:192
	;; [unrolled: 1-line block ×4, first 2 shown]
	ds_load_2addr_b32 v[6:7], v9 offset1:1
	ds_load_2addr_b64 v[58:61], v0 offset0:80 offset1:192
	ds_load_b64 v[68:69], v36
	ds_load_b64 v[70:71], v31 offset:6272
	ds_load_b64 v[72:73], v31 offset:15232
	v_fma_f32 v18, v28, v13, -v18
	v_fmac_f32_e32 v24, v27, v13
	global_wb scope:SCOPE_SE
	s_wait_loadcnt_dscnt 0x0
	v_mul_lo_u16 v81, 0x60, v79
	s_barrier_signal -1
	s_barrier_wait -1
	global_inv scope:SCOPE_SE
	v_sub_nc_u16 v4, v4, v81
	v_mul_f32_e32 v28, v16, v44
	s_delay_alu instid0(VALU_DEP_2) | instskip(SKIP_1) | instid1(VALU_DEP_3)
	v_and_b32_e32 v4, 0xffff, v4
	v_add_f32_e32 v92, v60, v24
	v_fmac_f32_e32 v28, v15, v43
	v_mul_f32_e32 v26, v65, v71
	v_fmac_f32_e32 v91, v23, v15
	v_mul_f32_e32 v23, v55, v20
	v_mul_f32_e32 v20, v54, v20
	s_delay_alu instid0(VALU_DEP_4) | instskip(SKIP_1) | instid1(VALU_DEP_4)
	v_fmac_f32_e32 v26, v29, v70
	v_mul_f32_e32 v63, v73, v45
	v_fmac_f32_e32 v23, v54, v19
	s_delay_alu instid0(VALU_DEP_4) | instskip(SKIP_3) | instid1(VALU_DEP_3)
	v_fma_f32 v19, v55, v19, -v20
	v_mul_f32_e32 v20, v14, v40
	v_dual_mul_f32 v54, v7, v14 :: v_dual_mul_f32 v25, v14, v39
	v_mul_f32_e32 v14, v14, v6
	v_dual_mul_f32 v55, v42, v62 :: v_dual_fmac_f32 v20, v13, v39
	v_mul_f32_e32 v27, v65, v70
	s_delay_alu instid0(VALU_DEP_4) | instskip(NEXT) | instid1(VALU_DEP_4)
	v_fmac_f32_e32 v54, v13, v6
	v_fma_f32 v6, v7, v13, -v14
	v_fma_f32 v13, v13, v40, -v25
	v_mul_f32_e32 v35, v16, v43
	v_fma_f32 v27, v29, v71, -v27
	v_mul_f32_e32 v29, v57, v16
	v_mul_f32_e32 v62, v41, v62
	;; [unrolled: 1-line block ×4, first 2 shown]
	v_fma_f32 v14, v15, v44, -v35
	v_dual_sub_f32 v44, v26, v12 :: v_dual_fmac_f32 v29, v56, v15
	v_sub_f32_e32 v56, v6, v22
	v_fma_f32 v25, v57, v15, -v16
	v_fmac_f32_e32 v55, v41, v64
	v_fma_f32 v15, v42, v64, -v62
	v_fmac_f32_e32 v63, v72, v34
	v_fma_f32 v34, v73, v34, -v7
	v_dual_add_f32 v7, v68, v20 :: v_dual_add_f32 v62, v6, v22
	v_dual_add_f32 v16, v20, v28 :: v_dual_sub_f32 v35, v13, v14
	v_add_f32_e32 v64, v58, v93
	v_add_f32_e32 v39, v69, v13
	v_dual_add_f32 v40, v13, v14 :: v_dual_sub_f32 v41, v20, v28
	v_dual_sub_f32 v70, v17, v19 :: v_dual_add_f32 v13, v50, v26
	v_add_f32_e32 v72, v17, v19
	v_dual_add_f32 v20, v26, v12 :: v_dual_add_f32 v43, v51, v27
	v_sub_f32_e32 v94, v18, v25
	v_sub_f32_e32 v42, v27, v21
	v_add_f32_e32 v27, v27, v21
	v_add_f32_e32 v45, v54, v91
	v_dual_add_f32 v65, v93, v23 :: v_dual_sub_f32 v96, v15, v34
	v_dual_sub_f32 v73, v93, v23 :: v_dual_add_f32 v98, v15, v34
	v_dual_add_f32 v93, v24, v29 :: v_dual_add_f32 v12, v13, v12
	v_add_f32_e32 v26, v52, v54
	v_dual_add_f32 v57, v53, v6 :: v_dual_sub_f32 v54, v54, v91
	v_add_f32_e32 v71, v59, v17
	v_add_f32_e32 v6, v7, v28
	;; [unrolled: 1-line block ×3, first 2 shown]
	v_dual_add_f32 v28, v61, v18 :: v_dual_sub_f32 v95, v24, v29
	v_dual_add_f32 v24, v37, v55 :: v_dual_add_f32 v39, v18, v25
	v_fma_f32 v68, -0.5, v16, v68
	v_add_f32_e32 v13, v43, v21
	v_add_f32_e32 v43, v55, v63
	v_fma_f32 v14, -0.5, v20, v50
	v_fmac_f32_e32 v69, -0.5, v40
	v_add_f32_e32 v97, v38, v15
	v_fma_f32 v15, -0.5, v27, v51
	v_fma_f32 v52, -0.5, v45, v52
	v_fmac_f32_e32 v53, -0.5, v62
	v_fma_f32 v60, -0.5, v93, v60
	v_sub_f32_e32 v55, v55, v63
	v_dual_add_f32 v16, v26, v91 :: v_dual_add_f32 v17, v57, v22
	v_add_f32_e32 v18, v64, v23
	v_fma_f32 v20, -0.5, v65, v58
	v_fma_f32 v21, -0.5, v72, v59
	v_add_f32_e32 v22, v92, v29
	v_add_f32_e32 v23, v28, v25
	;; [unrolled: 1-line block ×3, first 2 shown]
	v_fmac_f32_e32 v61, -0.5, v39
	v_fma_f32 v37, -0.5, v43, v37
	v_fmac_f32_e32 v38, -0.5, v98
	v_fmamk_f32 v26, v35, 0xbf5db3d7, v68
	v_fmamk_f32 v28, v42, 0xbf5db3d7, v14
	v_dual_fmac_f32 v14, 0x3f5db3d7, v42 :: v_dual_fmamk_f32 v27, v41, 0x3f5db3d7, v69
	v_fmac_f32_e32 v68, 0x3f5db3d7, v35
	v_fmac_f32_e32 v69, 0xbf5db3d7, v41
	v_fmamk_f32 v29, v44, 0x3f5db3d7, v15
	v_fmac_f32_e32 v15, 0xbf5db3d7, v44
	v_dual_fmamk_f32 v41, v94, 0xbf5db3d7, v60 :: v_dual_lshlrev_b32 v58, 3, v89
	v_fmac_f32_e32 v60, 0x3f5db3d7, v94
	v_dual_add_f32 v25, v97, v34 :: v_dual_fmamk_f32 v42, v95, 0x3f5db3d7, v61
	v_fmamk_f32 v34, v56, 0xbf5db3d7, v52
	v_dual_fmac_f32 v52, 0x3f5db3d7, v56 :: v_dual_fmamk_f32 v35, v54, 0x3f5db3d7, v53
	v_add_f32_e32 v19, v71, v19
	v_fmac_f32_e32 v53, 0xbf5db3d7, v54
	v_fmamk_f32 v39, v70, 0xbf5db3d7, v20
	v_fmac_f32_e32 v20, 0x3f5db3d7, v70
	v_fmamk_f32 v40, v73, 0x3f5db3d7, v21
	v_dual_fmac_f32 v21, 0xbf5db3d7, v73 :: v_dual_lshlrev_b32 v54, 3, v86
	v_dual_fmac_f32 v61, 0xbf5db3d7, v95 :: v_dual_lshlrev_b32 v64, 3, v4
	v_fmamk_f32 v43, v96, 0xbf5db3d7, v37
	v_dual_fmac_f32 v37, 0x3f5db3d7, v96 :: v_dual_fmamk_f32 v44, v55, 0x3f5db3d7, v38
	v_fmac_f32_e32 v38, 0xbf5db3d7, v55
	ds_store_2addr_b64 v80, v[6:7], v[26:27] offset1:32
	ds_store_b64 v80, v[68:69] offset:512
	ds_store_2addr_b64 v82, v[12:13], v[28:29] offset1:32
	ds_store_b64 v82, v[14:15] offset:512
	;; [unrolled: 2-line block ×6, first 2 shown]
	v_lshrrev_b32_e32 v6, 22, v75
	global_wb scope:SCOPE_SE
	s_wait_dscnt 0x0
	s_barrier_signal -1
	s_barrier_wait -1
	global_inv scope:SCOPE_SE
	v_mul_lo_u16 v28, 0x60, v6
	global_load_b128 v[12:15], v[66:67], off offset:752
	ds_load_2addr_b64 v[50:53], v2 offset0:80 offset1:192
	v_lshlrev_b32_e32 v20, 4, v89
	global_load_b128 v[16:19], v90, s[4:5] offset:752
	v_sub_nc_u16 v3, v3, v28
	v_lshlrev_b32_e32 v28, 4, v4
	v_mad_u32_u24 v62, 0x900, v6, 0
	global_load_b128 v[20:23], v20, s[4:5] offset:752
	v_mad_u32_u24 v34, 0x900, v78, 0
	v_and_b32_e32 v3, 0xffff, v3
	global_load_b128 v[37:40], v28, s[4:5] offset:752
	v_mad_u32_u24 v35, 0x900, v79, 0
	v_lshlrev_b32_e32 v28, 4, v3
	s_delay_alu instid0(VALU_DEP_2)
	v_add3_u32 v79, v35, v64, v8
	global_load_b128 v[41:44], v28, s[4:5] offset:752
	s_wait_alu 0xf1ff
	v_cndmask_b32_e64 v28, 0, 0x900, s0
	v_lshlrev_b32_e32 v29, 3, v74
	v_add_nc_u32_e32 v72, 0x1e00, v31
	v_add_nc_u32_e32 v73, 0x2600, v31
	v_cmp_gt_u32_e64 s0, 64, v30
	v_add_nc_u32_e32 v28, 0, v28
	s_delay_alu instid0(VALU_DEP_1) | instskip(SKIP_2) | instid1(VALU_DEP_2)
	v_add3_u32 v75, v28, v29, v8
	v_mad_u32_u24 v29, 0x900, v77, 0
	v_and_b32_e32 v28, 0xffff, v76
	v_add3_u32 v77, v29, v58, v8
	ds_load_2addr_b64 v[58:61], v1 offset0:48 offset1:160
	v_and_b32_e32 v7, 0xffff, v88
	v_mad_u32_u24 v28, 0x900, v28, 0
	s_delay_alu instid0(VALU_DEP_2) | instskip(NEXT) | instid1(VALU_DEP_2)
	v_lshlrev_b32_e32 v24, 4, v7
	v_add3_u32 v76, v28, v54, v8
	ds_load_2addr_b64 v[54:57], v11 offset0:16 offset1:128
	v_add_nc_u32_e32 v74, 0x3000, v31
	global_load_b128 v[24:27], v24, s[4:5] offset:752
	s_wait_loadcnt_dscnt 0x502
	v_mul_f32_e32 v82, v15, v53
	v_mul_f32_e32 v15, v15, v52
	s_wait_loadcnt_dscnt 0x400
	v_mul_f32_e32 v83, v17, v55
	s_delay_alu instid0(VALU_DEP_3)
	v_dual_mul_f32 v17, v17, v54 :: v_dual_fmac_f32 v82, v14, v52
	v_mul_f32_e32 v84, v19, v59
	s_wait_loadcnt 0x3
	v_mul_f32_e32 v86, v61, v23
	v_lshlrev_b32_e32 v63, 3, v7
	ds_load_2addr_b64 v[4:7], v5 offset0:48 offset1:160
	v_lshlrev_b32_e32 v3, 3, v3
	v_add_nc_u32_e32 v70, 0xc00, v31
	v_fmac_f32_e32 v86, v60, v22
	v_add3_u32 v78, v34, v63, v8
	v_dual_fmac_f32 v84, v18, v58 :: v_dual_add_nc_u32 v45, 0x200, v31
	v_add3_u32 v80, v62, v3, v8
	ds_load_2addr_b64 v[62:65], v31 offset0:112 offset1:224
	ds_load_2addr_b64 v[0:3], v0 offset0:80 offset1:192
	;; [unrolled: 1-line block ×4, first 2 shown]
	ds_load_b64 v[28:29], v36
	ds_load_b64 v[34:35], v31 offset:15232
	v_mul_f32_e32 v19, v19, v58
	v_fmac_f32_e32 v83, v16, v54
	v_add_nc_u32_e32 v71, 0x1400, v31
	v_fma_f32 v16, v16, v55, -v17
	global_wb scope:SCOPE_SE
	s_wait_loadcnt_dscnt 0x0
	s_barrier_signal -1
	s_barrier_wait -1
	global_inv scope:SCOPE_SE
	v_mul_f32_e32 v81, v13, v7
	v_mul_f32_e32 v13, v13, v6
	s_delay_alu instid0(VALU_DEP_2) | instskip(NEXT) | instid1(VALU_DEP_2)
	v_fmac_f32_e32 v81, v12, v6
	v_fma_f32 v6, v12, v7, -v13
	v_mul_f32_e32 v23, v60, v23
	v_fma_f32 v7, v14, v53, -v15
	s_delay_alu instid0(VALU_DEP_2) | instskip(SKIP_4) | instid1(VALU_DEP_4)
	v_fma_f32 v22, v61, v22, -v23
	v_dual_mul_f32 v87, v67, v25 :: v_dual_mul_f32 v14, v9, v27
	v_dual_mul_f32 v85, v57, v21 :: v_dual_mul_f32 v12, v8, v27
	v_fma_f32 v17, v18, v59, -v19
	v_mul_f32_e32 v18, v11, v40
	v_fmac_f32_e32 v14, v8, v26
	v_mul_f32_e32 v21, v56, v21
	v_fmac_f32_e32 v87, v66, v24
	v_mul_f32_e32 v25, v66, v25
	v_dual_fmac_f32 v85, v56, v20 :: v_dual_fmac_f32 v18, v10, v39
	s_delay_alu instid0(VALU_DEP_4) | instskip(NEXT) | instid1(VALU_DEP_4)
	v_fma_f32 v20, v57, v20, -v21
	v_add_f32_e32 v52, v87, v14
	v_mul_f32_e32 v21, v35, v44
	v_mul_f32_e32 v19, v10, v40
	v_dual_mul_f32 v40, v34, v44 :: v_dual_mul_f32 v15, v68, v38
	s_delay_alu instid0(VALU_DEP_3)
	v_dual_add_f32 v44, v65, v20 :: v_dual_fmac_f32 v21, v34, v43
	v_sub_f32_e32 v34, v81, v82
	v_fma_f32 v23, v67, v24, -v25
	v_mul_f32_e32 v27, v51, v42
	v_fma_f32 v25, v35, v43, -v40
	v_fma_f32 v24, v9, v26, -v12
	v_fma_f32 v8, v69, v37, -v15
	v_add_f32_e32 v54, v1, v23
	v_dual_sub_f32 v40, v83, v84 :: v_dual_mul_f32 v13, v69, v38
	v_add_f32_e32 v10, v28, v81
	v_mul_f32_e32 v38, v50, v42
	v_add_f32_e32 v42, v85, v86
	s_delay_alu instid0(VALU_DEP_4) | instskip(SKIP_1) | instid1(VALU_DEP_4)
	v_dual_sub_f32 v26, v6, v7 :: v_dual_fmac_f32 v13, v68, v37
	v_add_f32_e32 v12, v29, v6
	v_fma_f32 v9, v51, v41, -v38
	v_sub_f32_e32 v38, v16, v17
	v_fma_f32 v19, v11, v39, -v19
	v_dual_add_f32 v39, v63, v16 :: v_dual_add_f32 v16, v16, v17
	v_dual_fmac_f32 v27, v50, v41 :: v_dual_sub_f32 v50, v85, v86
	s_delay_alu instid0(VALU_DEP_3) | instskip(SKIP_1) | instid1(VALU_DEP_3)
	v_dual_sub_f32 v58, v8, v19 :: v_dual_add_f32 v11, v81, v82
	v_add_f32_e32 v56, v2, v13
	v_dual_add_f32 v66, v4, v27 :: v_dual_add_f32 v37, v83, v84
	v_add_f32_e32 v60, v8, v19
	v_add_f32_e32 v41, v64, v85
	;; [unrolled: 1-line block ×4, first 2 shown]
	v_dual_sub_f32 v53, v23, v24 :: v_dual_sub_f32 v68, v9, v25
	v_sub_f32_e32 v43, v20, v22
	v_add_f32_e32 v20, v20, v22
	v_fma_f32 v28, -0.5, v11, v28
	v_add_f32_e32 v51, v0, v87
	v_fma_f32 v11, -0.5, v16, v63
	v_fma_f32 v64, -0.5, v42, v64
	;; [unrolled: 1-line block ×3, first 2 shown]
	v_dual_add_f32 v0, v66, v21 :: v_dual_add_f32 v57, v13, v18
	v_sub_f32_e32 v61, v13, v18
	v_dual_add_f32 v18, v56, v18 :: v_dual_add_f32 v67, v27, v21
	v_dual_add_f32 v23, v23, v24 :: v_dual_add_f32 v6, v10, v82
	v_add_f32_e32 v7, v12, v7
	v_fma_f32 v10, -0.5, v37, v62
	v_dual_add_f32 v59, v3, v8 :: v_dual_add_f32 v12, v41, v86
	v_add_f32_e32 v8, v35, v84
	v_dual_fmac_f32 v65, -0.5, v20 :: v_dual_fmamk_f32 v20, v26, 0xbf5db3d7, v28
	v_fmac_f32_e32 v28, 0x3f5db3d7, v26
	v_fmamk_f32 v26, v53, 0xbf5db3d7, v16
	v_fma_f32 v4, -0.5, v67, v4
	v_fmac_f32_e32 v29, -0.5, v15
	v_dual_add_f32 v15, v54, v24 :: v_dual_fmamk_f32 v24, v43, 0xbf5db3d7, v64
	v_fma_f32 v2, -0.5, v57, v2
	v_add_f32_e32 v81, v9, v25
	v_sub_f32_e32 v55, v87, v14
	v_dual_add_f32 v69, v5, v9 :: v_dual_add_f32 v14, v51, v14
	v_add_f32_e32 v9, v39, v17
	v_fma_f32 v17, -0.5, v23, v1
	v_dual_fmac_f32 v3, -0.5, v60 :: v_dual_fmac_f32 v64, 0x3f5db3d7, v43
	v_sub_f32_e32 v83, v27, v21
	v_fmamk_f32 v21, v34, 0x3f5db3d7, v29
	v_fmamk_f32 v37, v58, 0xbf5db3d7, v2
	v_dual_fmac_f32 v2, 0x3f5db3d7, v58 :: v_dual_fmac_f32 v5, -0.5, v81
	v_fmac_f32_e32 v29, 0xbf5db3d7, v34
	v_dual_add_f32 v13, v44, v22 :: v_dual_fmamk_f32 v22, v38, 0xbf5db3d7, v10
	v_dual_fmamk_f32 v23, v40, 0x3f5db3d7, v11 :: v_dual_fmac_f32 v10, 0x3f5db3d7, v38
	v_fmamk_f32 v38, v61, 0x3f5db3d7, v3
	v_fmac_f32_e32 v11, 0xbf5db3d7, v40
	v_add_f32_e32 v19, v59, v19
	v_add_f32_e32 v1, v69, v25
	v_dual_fmamk_f32 v25, v50, 0x3f5db3d7, v65 :: v_dual_fmac_f32 v16, 0x3f5db3d7, v53
	v_fmamk_f32 v27, v55, 0x3f5db3d7, v17
	v_fmac_f32_e32 v17, 0xbf5db3d7, v55
	v_fmac_f32_e32 v65, 0xbf5db3d7, v50
	v_dual_fmac_f32 v3, 0xbf5db3d7, v61 :: v_dual_fmamk_f32 v34, v68, 0xbf5db3d7, v4
	v_dual_fmac_f32 v4, 0x3f5db3d7, v68 :: v_dual_fmamk_f32 v35, v83, 0x3f5db3d7, v5
	v_fmac_f32_e32 v5, 0xbf5db3d7, v83
	ds_store_2addr_b64 v75, v[6:7], v[20:21] offset1:96
	ds_store_b64 v75, v[28:29] offset:1536
	ds_store_2addr_b64 v76, v[8:9], v[22:23] offset1:96
	ds_store_b64 v76, v[10:11] offset:1536
	ds_store_2addr_b64 v77, v[12:13], v[24:25] offset1:96
	ds_store_b64 v77, v[64:65] offset:1536
	ds_store_2addr_b64 v78, v[14:15], v[26:27] offset1:96
	ds_store_b64 v78, v[16:17] offset:1536
	ds_store_2addr_b64 v79, v[18:19], v[37:38] offset1:96
	ds_store_b64 v79, v[2:3] offset:1536
	ds_store_2addr_b64 v80, v[0:1], v[34:35] offset1:96
	ds_store_b64 v80, v[4:5] offset:1536
	global_wb scope:SCOPE_SE
	s_wait_dscnt 0x0
	s_barrier_signal -1
	s_barrier_wait -1
	global_inv scope:SCOPE_SE
	ds_load_2addr_b64 v[6:9], v45 offset0:48 offset1:224
	ds_load_2addr_b64 v[26:29], v70 offset0:16 offset1:192
	;; [unrolled: 1-line block ×6, first 2 shown]
	ds_load_b64 v[42:43], v36
	ds_load_b64 v[44:45], v31 offset:14720
                                        ; implicit-def: $vgpr37
                                        ; implicit-def: $vgpr41
                                        ; implicit-def: $vgpr39
	s_and_saveexec_b32 s1, s0
	s_cbranch_execz .LBB0_19
; %bb.18:
	ds_load_b64 v[2:3], v31 offset:1792
	ds_load_b64 v[0:1], v31 offset:4096
	;; [unrolled: 1-line block ×7, first 2 shown]
.LBB0_19:
	s_wait_alu 0xfffe
	s_or_b32 exec_lo, exec_lo, s1
	v_mul_u32_u24_e32 v50, 6, v30
	v_lshl_add_u32 v47, v47, 3, v49
	s_delay_alu instid0(VALU_DEP_2)
	v_lshlrev_b32_e32 v70, 3, v50
	s_clause 0x5
	global_load_b128 v[50:53], v70, s[4:5] offset:2288
	global_load_b128 v[54:57], v70, s[4:5] offset:2304
	;; [unrolled: 1-line block ×6, first 2 shown]
	global_wb scope:SCOPE_SE
	s_wait_loadcnt_dscnt 0x0
	s_barrier_signal -1
	s_barrier_wait -1
	global_inv scope:SCOPE_SE
	v_mul_f32_e32 v49, v51, v9
	v_dual_mul_f32 v51, v51, v8 :: v_dual_mul_f32 v74, v53, v29
	v_dual_mul_f32 v53, v53, v28 :: v_dual_mul_f32 v82, v15, v69
	;; [unrolled: 1-line block ×4, first 2 shown]
	s_delay_alu instid0(VALU_DEP_4) | instskip(SKIP_1) | instid1(VALU_DEP_4)
	v_dual_mul_f32 v77, v59, v17 :: v_dual_fmac_f32 v74, v52, v28
	v_dual_mul_f32 v59, v59, v16 :: v_dual_mul_f32 v78, v61, v13
	v_dual_mul_f32 v57, v57, v20 :: v_dual_fmac_f32 v80, v64, v22
	v_dual_mul_f32 v79, v63, v27 :: v_dual_mul_f32 v84, v45, v73
	v_dual_mul_f32 v63, v63, v26 :: v_dual_fmac_f32 v76, v56, v20
	v_fmac_f32_e32 v75, v54, v24
	v_fmac_f32_e32 v49, v50, v8
	v_fma_f32 v8, v50, v9, -v51
	v_fma_f32 v9, v52, v29, -v53
	v_fmac_f32_e32 v77, v58, v16
	v_fma_f32 v16, v58, v17, -v59
	v_mul_f32_e32 v83, v11, v71
	v_dual_mul_f32 v65, v65, v22 :: v_dual_fmac_f32 v78, v60, v12
	v_fma_f32 v24, v54, v25, -v55
	v_fma_f32 v20, v56, v21, -v57
	s_delay_alu instid0(VALU_DEP_4)
	v_dual_add_f32 v22, v9, v16 :: v_dual_fmac_f32 v83, v10, v70
	v_dual_mul_f32 v81, v19, v67 :: v_dual_fmac_f32 v82, v14, v68
	v_dual_mul_f32 v67, v18, v67 :: v_dual_fmac_f32 v84, v44, v72
	v_fmac_f32_e32 v79, v62, v26
	v_add_f32_e32 v25, v24, v20
	v_sub_f32_e32 v20, v20, v24
	v_mul_f32_e32 v73, v44, v73
	v_sub_f32_e32 v44, v80, v83
	v_dual_add_f32 v24, v79, v84 :: v_dual_mul_f32 v71, v10, v71
	v_fma_f32 v17, v64, v23, -v65
	v_sub_f32_e32 v9, v9, v16
	v_dual_add_f32 v16, v75, v76 :: v_dual_fmac_f32 v81, v18, v66
	v_sub_f32_e32 v28, v79, v84
	v_fma_f32 v10, v11, v70, -v71
	v_fma_f32 v18, v19, v66, -v67
	;; [unrolled: 1-line block ×3, first 2 shown]
	v_sub_f32_e32 v26, v76, v75
	s_delay_alu instid0(VALU_DEP_4) | instskip(SKIP_3) | instid1(VALU_DEP_2)
	v_dual_add_f32 v54, v20, v9 :: v_dual_add_f32 v29, v17, v10
	v_sub_f32_e32 v10, v17, v10
	v_dual_mul_f32 v61, v61, v12 :: v_dual_sub_f32 v56, v20, v9
	v_add_f32_e32 v17, v81, v82
	v_fma_f32 v12, v60, v13, -v61
	v_mul_f32_e32 v69, v14, v69
	v_fma_f32 v13, v62, v27, -v63
	s_delay_alu instid0(VALU_DEP_3) | instskip(SKIP_1) | instid1(VALU_DEP_4)
	v_add_f32_e32 v19, v8, v12
	v_sub_f32_e32 v8, v8, v12
	v_fma_f32 v14, v15, v68, -v69
	v_add_f32_e32 v12, v74, v77
	v_sub_f32_e32 v23, v74, v77
	v_add_f32_e32 v27, v13, v11
	v_dual_sub_f32 v11, v13, v11 :: v_dual_sub_f32 v20, v8, v20
	v_add_f32_e32 v45, v18, v14
	v_sub_f32_e32 v14, v14, v18
	s_delay_alu instid0(VALU_DEP_4) | instskip(SKIP_3) | instid1(VALU_DEP_3)
	v_add_f32_e32 v58, v29, v27
	v_dual_add_f32 v15, v49, v78 :: v_dual_add_f32 v50, v22, v19
	v_dual_sub_f32 v21, v49, v78 :: v_dual_sub_f32 v52, v22, v19
	v_dual_sub_f32 v49, v82, v81 :: v_dual_sub_f32 v60, v29, v27
	v_add_f32_e32 v18, v12, v15
	v_dual_sub_f32 v51, v12, v15 :: v_dual_add_f32 v62, v14, v10
	v_dual_sub_f32 v15, v15, v16 :: v_dual_sub_f32 v64, v14, v10
	v_dual_sub_f32 v12, v16, v12 :: v_dual_add_f32 v53, v26, v23
	v_dual_sub_f32 v14, v11, v14 :: v_dual_sub_f32 v55, v26, v23
	v_add_f32_e32 v16, v16, v18
	v_dual_sub_f32 v26, v21, v26 :: v_dual_add_f32 v13, v80, v83
	v_dual_sub_f32 v22, v25, v22 :: v_dual_sub_f32 v23, v23, v21
	v_add_f32_e32 v18, v25, v50
	v_sub_f32_e32 v57, v9, v8
	s_delay_alu instid0(VALU_DEP_4) | instskip(SKIP_4) | instid1(VALU_DEP_3)
	v_add_f32_e32 v9, v13, v24
	v_mul_f32_e32 v15, 0x3f4a47b2, v15
	v_dual_sub_f32 v19, v19, v25 :: v_dual_sub_f32 v10, v10, v11
	v_sub_f32_e32 v59, v13, v24
	v_dual_sub_f32 v27, v27, v45 :: v_dual_mul_f32 v50, 0x3d64c772, v12
	v_dual_add_f32 v61, v49, v44 :: v_dual_mul_f32 v66, 0xbf5ff5aa, v10
	v_dual_add_f32 v25, v54, v8 :: v_dual_mul_f32 v54, 0x3f08b237, v55
	v_add_f32_e32 v8, v42, v16
	v_dual_sub_f32 v63, v49, v44 :: v_dual_fmamk_f32 v12, v12, 0x3d64c772, v15
	v_sub_f32_e32 v44, v44, v28
	v_sub_f32_e32 v24, v24, v17
	v_sub_f32_e32 v13, v17, v13
	v_mul_f32_e32 v55, 0x3f08b237, v56
	v_dual_mul_f32 v56, 0xbf5ff5aa, v23 :: v_dual_add_f32 v17, v17, v9
	v_sub_f32_e32 v29, v45, v29
	v_add_f32_e32 v21, v53, v21
	v_fma_f32 v42, 0x3f3bfb3b, v51, -v50
	v_fmamk_f32 v50, v26, 0xbeae86e6, v54
	v_dual_mul_f32 v19, 0x3f4a47b2, v19 :: v_dual_add_f32 v6, v6, v17
	v_mul_f32_e32 v53, 0x3d64c772, v22
	v_add_f32_e32 v11, v62, v11
	v_dual_mul_f32 v62, 0x3f08b237, v63 :: v_dual_mul_f32 v63, 0x3f08b237, v64
	v_mul_f32_e32 v65, 0xbf5ff5aa, v57
	v_dual_add_f32 v45, v45, v58 :: v_dual_mul_f32 v24, 0x3f4a47b2, v24
	v_dual_mul_f32 v58, 0x3d64c772, v13 :: v_dual_add_f32 v9, v43, v18
	v_fmamk_f32 v22, v22, 0x3d64c772, v19
	v_fma_f32 v43, 0x3f3bfb3b, v52, -v53
	v_fma_f32 v15, 0xbf3bfb3b, v51, -v15
	;; [unrolled: 1-line block ×5, first 2 shown]
	v_fmamk_f32 v10, v16, 0xbf955555, v8
	v_fma_f32 v26, 0x3eae86e6, v26, -v56
	v_fma_f32 v53, 0x3f3bfb3b, v59, -v58
	v_fmac_f32_e32 v52, 0xbee1c552, v25
	v_dual_fmamk_f32 v56, v14, 0xbeae86e6, v63 :: v_dual_add_f32 v7, v7, v45
	v_fma_f32 v58, 0x3eae86e6, v14, -v66
	v_fmamk_f32 v14, v18, 0xbf955555, v9
	v_add_f32_e32 v18, v12, v10
	v_add_f32_e32 v12, v42, v10
	;; [unrolled: 1-line block ×3, first 2 shown]
	v_fmamk_f32 v51, v20, 0xbeae86e6, v55
	v_fma_f32 v20, 0x3eae86e6, v20, -v65
	v_dual_sub_f32 v49, v28, v49 :: v_dual_add_f32 v28, v61, v28
	v_mul_f32_e32 v64, 0xbf5ff5aa, v44
	v_fma_f32 v23, 0xbf5ff5aa, v23, -v54
	v_fmac_f32_e32 v50, 0xbee1c552, v21
	v_dual_fmac_f32 v20, 0xbee1c552, v25 :: v_dual_fmac_f32 v57, 0xbee1c552, v11
	v_mul_f32_e32 v27, 0x3f4a47b2, v27
	v_dual_fmamk_f32 v55, v49, 0xbeae86e6, v62 :: v_dual_sub_f32 v10, v12, v52
	v_fma_f32 v44, 0xbf5ff5aa, v44, -v62
	v_fmac_f32_e32 v23, 0xbee1c552, v21
	s_delay_alu instid0(VALU_DEP_3)
	v_dual_fmac_f32 v26, 0xbee1c552, v21 :: v_dual_fmac_f32 v55, 0xbee1c552, v28
	v_dual_fmamk_f32 v16, v17, 0xbf955555, v6 :: v_dual_add_f32 v21, v22, v14
	v_add_f32_e32 v22, v43, v14
	v_add_f32_e32 v19, v19, v14
	v_dual_sub_f32 v14, v15, v20 :: v_dual_fmac_f32 v51, 0xbee1c552, v25
	v_fmac_f32_e32 v56, 0xbee1c552, v11
	v_fmamk_f32 v13, v13, 0x3d64c772, v24
	v_fma_f32 v24, 0xbf3bfb3b, v59, -v24
	v_fma_f32 v49, 0x3eae86e6, v49, -v64
	ds_store_2addr_b64 v31, v[8:9], v[6:7] offset1:112
	v_dual_add_f32 v6, v51, v18 :: v_dual_mul_f32 v61, 0x3d64c772, v29
	v_dual_fmamk_f32 v17, v45, 0xbf955555, v7 :: v_dual_add_f32 v12, v52, v12
	v_fmac_f32_e32 v44, 0xbee1c552, v28
	v_dual_fmac_f32 v49, 0xbee1c552, v28 :: v_dual_fmac_f32 v58, 0xbee1c552, v11
	v_add_f32_e32 v28, v13, v16
	v_fma_f32 v54, 0x3f3bfb3b, v60, -v61
	v_add_f32_e32 v43, v24, v16
	v_dual_add_f32 v25, v53, v16 :: v_dual_sub_f32 v16, v18, v51
	v_dual_fmamk_f32 v29, v29, 0x3d64c772, v27 :: v_dual_add_f32 v8, v20, v15
	v_fma_f32 v27, 0xbf3bfb3b, v60, -v27
	v_dual_add_f32 v42, v54, v17 :: v_dual_sub_f32 v7, v21, v50
	v_add_f32_e32 v11, v23, v22
	v_sub_f32_e32 v13, v22, v23
	s_delay_alu instid0(VALU_DEP_4)
	v_dual_add_f32 v27, v27, v17 :: v_dual_add_f32 v18, v56, v28
	v_dual_sub_f32 v28, v28, v56 :: v_dual_sub_f32 v9, v19, v26
	v_dual_add_f32 v15, v26, v19 :: v_dual_sub_f32 v26, v43, v58
	v_add_f32_e32 v24, v57, v25
	v_sub_f32_e32 v22, v25, v57
	v_dual_add_f32 v29, v29, v17 :: v_dual_add_f32 v20, v58, v43
	v_add_f32_e32 v17, v50, v21
	v_sub_f32_e32 v21, v27, v49
	v_add_f32_e32 v23, v44, v42
	s_delay_alu instid0(VALU_DEP_4)
	v_sub_f32_e32 v19, v29, v55
	v_sub_f32_e32 v25, v42, v44
	v_add_f32_e32 v27, v49, v27
	v_add_f32_e32 v29, v55, v29
	ds_store_b64 v31, v[6:7] offset:2304
	ds_store_b64 v31, v[8:9] offset:4608
	;; [unrolled: 1-line block ×12, first 2 shown]
	s_and_saveexec_b32 s1, s0
	s_cbranch_execz .LBB0_21
; %bb.20:
	v_subrev_nc_u32_e32 v6, 64, v30
	v_mov_b32_e32 v7, 0
	s_delay_alu instid0(VALU_DEP_2) | instskip(NEXT) | instid1(VALU_DEP_1)
	v_cndmask_b32_e64 v6, v6, v48, s0
	v_mul_i32_i24_e32 v6, 6, v6
	s_delay_alu instid0(VALU_DEP_1) | instskip(NEXT) | instid1(VALU_DEP_1)
	v_lshlrev_b64_e32 v[6:7], 3, v[6:7]
	v_add_co_u32 v14, s0, s4, v6
	s_wait_alu 0xf1ff
	s_delay_alu instid0(VALU_DEP_2)
	v_add_co_ci_u32_e64 v15, s0, s5, v7, s0
	s_clause 0x2
	global_load_b128 v[6:9], v[14:15], off offset:2288
	global_load_b128 v[10:13], v[14:15], off offset:2320
	;; [unrolled: 1-line block ×3, first 2 shown]
	s_wait_loadcnt 0x2
	v_mul_f32_e32 v18, v1, v7
	s_wait_loadcnt 0x1
	v_mul_f32_e32 v19, v41, v13
	;; [unrolled: 2-line block ×3, first 2 shown]
	v_dual_mul_f32 v21, v5, v15 :: v_dual_mul_f32 v22, v35, v9
	v_mul_f32_e32 v23, v39, v11
	v_mul_f32_e32 v7, v0, v7
	;; [unrolled: 1-line block ×4, first 2 shown]
	v_fmac_f32_e32 v18, v0, v6
	v_fmac_f32_e32 v22, v34, v8
	v_fma_f32 v1, v1, v6, -v7
	v_fma_f32 v6, v39, v10, -v11
	v_mul_f32_e32 v9, v34, v9
	v_fma_f32 v0, v41, v12, -v13
	v_fmac_f32_e32 v20, v36, v16
	v_mul_f32_e32 v15, v4, v15
	s_delay_alu instid0(VALU_DEP_4) | instskip(NEXT) | instid1(VALU_DEP_4)
	v_fma_f32 v7, v35, v8, -v9
	v_add_f32_e32 v11, v1, v0
	s_delay_alu instid0(VALU_DEP_2) | instskip(SKIP_1) | instid1(VALU_DEP_1)
	v_dual_sub_f32 v0, v1, v0 :: v_dual_add_f32 v13, v7, v6
	v_fmac_f32_e32 v23, v38, v10
	v_dual_fmac_f32 v19, v40, v12 :: v_dual_sub_f32 v10, v22, v23
	s_delay_alu instid0(VALU_DEP_1) | instskip(SKIP_3) | instid1(VALU_DEP_4)
	v_dual_mul_f32 v17, v36, v17 :: v_dual_sub_f32 v8, v18, v19
	v_fmac_f32_e32 v21, v4, v14
	v_fma_f32 v4, v5, v14, -v15
	v_add_f32_e32 v14, v18, v19
	v_fma_f32 v5, v37, v16, -v17
	s_delay_alu instid0(VALU_DEP_4) | instskip(SKIP_1) | instid1(VALU_DEP_3)
	v_dual_add_f32 v18, v13, v11 :: v_dual_sub_f32 v9, v20, v21
	v_add_f32_e32 v16, v22, v23
	v_dual_add_f32 v12, v4, v5 :: v_dual_sub_f32 v1, v5, v4
	s_delay_alu instid0(VALU_DEP_3) | instskip(SKIP_1) | instid1(VALU_DEP_3)
	v_dual_sub_f32 v4, v7, v6 :: v_dual_sub_f32 v5, v8, v9
	v_sub_f32_e32 v6, v9, v10
	v_dual_add_f32 v15, v21, v20 :: v_dual_sub_f32 v22, v0, v1
	s_delay_alu instid0(VALU_DEP_2) | instskip(NEXT) | instid1(VALU_DEP_2)
	v_mul_f32_e32 v6, 0x3f08b237, v6
	v_dual_add_f32 v7, v9, v10 :: v_dual_sub_f32 v20, v15, v16
	v_sub_f32_e32 v9, v11, v12
	v_add_f32_e32 v21, v16, v14
	v_sub_f32_e32 v19, v14, v15
	v_dual_sub_f32 v10, v10, v8 :: v_dual_sub_f32 v17, v12, v13
	v_sub_f32_e32 v11, v13, v11
	v_dual_sub_f32 v13, v16, v14 :: v_dual_fmamk_f32 v24, v5, 0xbeae86e6, v6
	v_dual_add_f32 v12, v12, v18 :: v_dual_add_f32 v7, v7, v8
	v_mul_f32_e32 v8, 0x3f4a47b2, v9
	v_dual_mul_f32 v16, 0x3d64c772, v20 :: v_dual_add_f32 v15, v15, v21
	v_sub_f32_e32 v23, v1, v4
	v_add_f32_e32 v1, v1, v4
	v_sub_f32_e32 v4, v4, v0
	v_mul_f32_e32 v14, 0x3f4a47b2, v19
	v_fma_f32 v6, 0xbf5ff5aa, v10, -v6
	v_mul_f32_e32 v21, 0xbf5ff5aa, v10
	v_add_f32_e32 v19, v1, v0
	v_add_f32_e32 v1, v3, v12
	v_fmamk_f32 v3, v20, 0x3d64c772, v14
	s_delay_alu instid0(VALU_DEP_4) | instskip(SKIP_1) | instid1(VALU_DEP_4)
	v_fma_f32 v21, 0x3eae86e6, v5, -v21
	v_fma_f32 v5, 0xbf3bfb3b, v13, -v14
	v_fmamk_f32 v10, v12, 0xbf955555, v1
	v_fmac_f32_e32 v24, 0xbee1c552, v7
	v_add_f32_e32 v0, v2, v15
	v_mul_f32_e32 v18, 0x3f08b237, v23
	v_mul_f32_e32 v9, 0x3d64c772, v17
	v_fmac_f32_e32 v6, 0xbee1c552, v7
	s_delay_alu instid0(VALU_DEP_3) | instskip(SKIP_2) | instid1(VALU_DEP_3)
	v_fmamk_f32 v20, v22, 0xbeae86e6, v18
	v_fma_f32 v2, 0xbf3bfb3b, v11, -v8
	v_fma_f32 v14, 0xbf5ff5aa, v4, -v18
	v_fmac_f32_e32 v20, 0xbee1c552, v19
	v_fmamk_f32 v17, v17, 0x3d64c772, v8
	s_delay_alu instid0(VALU_DEP_3) | instskip(NEXT) | instid1(VALU_DEP_2)
	v_fmac_f32_e32 v14, 0xbee1c552, v19
	v_add_f32_e32 v12, v17, v10
	v_fma_f32 v9, 0x3f3bfb3b, v11, -v9
	v_fmamk_f32 v11, v15, 0xbf955555, v0
	s_delay_alu instid0(VALU_DEP_2) | instskip(NEXT) | instid1(VALU_DEP_2)
	v_add_f32_e32 v9, v9, v10
	v_add_f32_e32 v15, v3, v11
	v_mul_f32_e32 v23, 0xbf5ff5aa, v4
	v_fma_f32 v4, 0x3f3bfb3b, v13, -v16
	v_dual_add_f32 v13, v2, v10 :: v_dual_add_f32 v16, v5, v11
	v_fmac_f32_e32 v21, 0xbee1c552, v7
	v_add_f32_e32 v3, v24, v12
	s_delay_alu instid0(VALU_DEP_4)
	v_add_f32_e32 v17, v4, v11
	v_sub_f32_e32 v7, v9, v6
	v_add_f32_e32 v9, v6, v9
	v_add_f32_e32 v5, v21, v13
	v_sub_f32_e32 v11, v13, v21
	v_sub_f32_e32 v13, v12, v24
	v_add_f32_e32 v12, v20, v15
	v_fma_f32 v8, 0x3eae86e6, v22, -v23
	v_add_f32_e32 v6, v14, v17
	v_sub_f32_e32 v2, v15, v20
	s_delay_alu instid0(VALU_DEP_3) | instskip(NEXT) | instid1(VALU_DEP_1)
	v_fmac_f32_e32 v8, 0xbee1c552, v19
	v_add_f32_e32 v10, v8, v16
	v_sub_f32_e32 v4, v16, v8
	v_sub_f32_e32 v8, v17, v14
	ds_store_b64 v31, v[0:1] offset:1792
	ds_store_b64 v31, v[12:13] offset:4096
	;; [unrolled: 1-line block ×7, first 2 shown]
.LBB0_21:
	s_wait_alu 0xfffe
	s_or_b32 exec_lo, exec_lo, s1
	global_wb scope:SCOPE_SE
	s_wait_dscnt 0x0
	s_barrier_signal -1
	s_barrier_wait -1
	global_inv scope:SCOPE_SE
	s_and_saveexec_b32 s0, vcc_lo
	s_cbranch_execz .LBB0_23
; %bb.22:
	v_dual_mov_b32 v31, 0 :: v_dual_add_nc_u32 v6, 0x70, v30
	v_lshl_add_u32 v20, v30, 3, v46
	v_add_co_u32 v24, vcc_lo, s8, v32
	s_delay_alu instid0(VALU_DEP_3)
	v_lshlrev_b64_e32 v[4:5], 3, v[30:31]
	s_wait_alu 0xfffd
	v_add_co_ci_u32_e32 v25, vcc_lo, s9, v33, vcc_lo
	v_dual_mov_b32 v7, v31 :: v_dual_add_nc_u32 v8, 0xe0, v30
	v_dual_mov_b32 v9, v31 :: v_dual_add_nc_u32 v14, 0x400, v20
	ds_load_2addr_b64 v[0:3], v20 offset1:112
	v_add_co_u32 v10, vcc_lo, v24, v4
	s_wait_alu 0xfffd
	v_add_co_ci_u32_e32 v11, vcc_lo, v25, v5, vcc_lo
	v_lshlrev_b64_e32 v[12:13], 3, v[6:7]
	ds_load_2addr_b64 v[4:7], v14 offset0:96 offset1:208
	v_dual_mov_b32 v15, v31 :: v_dual_add_nc_u32 v14, 0x150, v30
	v_lshlrev_b64_e32 v[8:9], 3, v[8:9]
	v_dual_mov_b32 v17, v31 :: v_dual_add_nc_u32 v16, 0x1c0, v30
	v_add_co_u32 v12, vcc_lo, v24, v12
	s_delay_alu instid0(VALU_DEP_4)
	v_lshlrev_b64_e32 v[14:15], 3, v[14:15]
	s_wait_alu 0xfffd
	v_add_co_ci_u32_e32 v13, vcc_lo, v25, v13, vcc_lo
	v_add_co_u32 v8, vcc_lo, v24, v8
	s_wait_alu 0xfffd
	v_add_co_ci_u32_e32 v9, vcc_lo, v25, v9, vcc_lo
	v_add_co_u32 v14, vcc_lo, v24, v14
	s_wait_alu 0xfffd
	v_add_co_ci_u32_e32 v15, vcc_lo, v25, v15, vcc_lo
	s_wait_dscnt 0x1
	s_clause 0x1
	global_store_b64 v[10:11], v[0:1], off
	global_store_b64 v[12:13], v[2:3], off
	s_wait_dscnt 0x0
	s_clause 0x1
	global_store_b64 v[8:9], v[4:5], off
	global_store_b64 v[14:15], v[6:7], off
	v_lshlrev_b64_e32 v[4:5], 3, v[16:17]
	v_dual_mov_b32 v7, v31 :: v_dual_add_nc_u32 v18, 0xc00, v20
	v_dual_mov_b32 v9, v31 :: v_dual_add_nc_u32 v6, 0x230, v30
	v_add_nc_u32_e32 v14, 0x1400, v20
	ds_load_2addr_b64 v[0:3], v18 offset0:64 offset1:176
	v_add_co_u32 v10, vcc_lo, v24, v4
	v_dual_mov_b32 v15, v31 :: v_dual_add_nc_u32 v8, 0x2a0, v30
	s_wait_alu 0xfffd
	v_add_co_ci_u32_e32 v11, vcc_lo, v25, v5, vcc_lo
	v_lshlrev_b64_e32 v[12:13], 3, v[6:7]
	ds_load_2addr_b64 v[4:7], v14 offset0:32 offset1:144
	v_add_nc_u32_e32 v14, 0x310, v30
	v_lshlrev_b64_e32 v[8:9], 3, v[8:9]
	v_add_nc_u32_e32 v16, 0x380, v30
	v_add_nc_u32_e32 v18, 0x1800, v20
	v_add_co_u32 v12, vcc_lo, v24, v12
	v_lshlrev_b64_e32 v[14:15], 3, v[14:15]
	s_wait_alu 0xfffd
	v_add_co_ci_u32_e32 v13, vcc_lo, v25, v13, vcc_lo
	v_add_co_u32 v8, vcc_lo, v24, v8
	s_wait_alu 0xfffd
	v_add_co_ci_u32_e32 v9, vcc_lo, v25, v9, vcc_lo
	v_add_co_u32 v14, vcc_lo, v24, v14
	s_wait_alu 0xfffd
	v_add_co_ci_u32_e32 v15, vcc_lo, v25, v15, vcc_lo
	s_wait_dscnt 0x1
	s_clause 0x1
	global_store_b64 v[10:11], v[0:1], off
	global_store_b64 v[12:13], v[2:3], off
	s_wait_dscnt 0x0
	s_clause 0x1
	global_store_b64 v[8:9], v[4:5], off
	global_store_b64 v[14:15], v[6:7], off
	v_mov_b32_e32 v15, v31
	v_lshlrev_b64_e32 v[4:5], 3, v[16:17]
	v_dual_mov_b32 v7, v31 :: v_dual_add_nc_u32 v6, 0x3f0, v30
	v_dual_mov_b32 v19, v31 :: v_dual_add_nc_u32 v14, 0x2000, v20
	ds_load_2addr_b64 v[0:3], v18 offset0:128 offset1:240
	v_add_co_u32 v10, vcc_lo, v24, v4
	v_dual_mov_b32 v9, v31 :: v_dual_add_nc_u32 v8, 0x460, v30
	s_wait_alu 0xfffd
	v_add_co_ci_u32_e32 v11, vcc_lo, v25, v5, vcc_lo
	v_lshlrev_b64_e32 v[12:13], 3, v[6:7]
	ds_load_2addr_b64 v[4:7], v14 offset0:96 offset1:208
	v_add_nc_u32_e32 v14, 0x4d0, v30
	v_lshlrev_b64_e32 v[8:9], 3, v[8:9]
	v_add_nc_u32_e32 v16, 0x540, v30
	v_add_nc_u32_e32 v18, 0x2800, v20
	v_add_co_u32 v12, vcc_lo, v24, v12
	v_lshlrev_b64_e32 v[14:15], 3, v[14:15]
	s_wait_alu 0xfffd
	v_add_co_ci_u32_e32 v13, vcc_lo, v25, v13, vcc_lo
	v_add_co_u32 v8, vcc_lo, v24, v8
	s_wait_alu 0xfffd
	v_add_co_ci_u32_e32 v9, vcc_lo, v25, v9, vcc_lo
	v_add_co_u32 v14, vcc_lo, v24, v14
	s_wait_alu 0xfffd
	v_add_co_ci_u32_e32 v15, vcc_lo, v25, v15, vcc_lo
	s_wait_dscnt 0x1
	s_clause 0x1
	global_store_b64 v[10:11], v[0:1], off
	global_store_b64 v[12:13], v[2:3], off
	s_wait_dscnt 0x0
	s_clause 0x1
	global_store_b64 v[8:9], v[4:5], off
	global_store_b64 v[14:15], v[6:7], off
	v_dual_mov_b32 v11, v31 :: v_dual_add_nc_u32 v4, 0x5b0, v30
	v_mov_b32_e32 v5, v31
	v_lshlrev_b64_e32 v[16:17], 3, v[16:17]
	v_dual_mov_b32 v9, v31 :: v_dual_add_nc_u32 v8, 0x620, v30
	v_add_nc_u32_e32 v10, 0x690, v30
	s_delay_alu instid0(VALU_DEP_4)
	v_lshlrev_b64_e32 v[4:5], 3, v[4:5]
	v_add_nc_u32_e32 v6, 0x3000, v20
	v_add_co_u32 v12, vcc_lo, v24, v16
	v_lshlrev_b64_e32 v[8:9], 3, v[8:9]
	s_wait_alu 0xfffd
	v_add_co_ci_u32_e32 v13, vcc_lo, v25, v17, vcc_lo
	v_add_co_u32 v14, vcc_lo, v24, v4
	v_lshlrev_b64_e32 v[16:17], 3, v[10:11]
	v_add_nc_u32_e32 v10, 0x3800, v20
	ds_load_2addr_b64 v[0:3], v18 offset0:64 offset1:176
	s_wait_alu 0xfffd
	v_add_co_ci_u32_e32 v15, vcc_lo, v25, v5, vcc_lo
	ds_load_2addr_b64 v[4:7], v6 offset0:32 offset1:144
	v_add_co_u32 v20, vcc_lo, v24, v8
	v_add_nc_u32_e32 v18, 0x700, v30
	s_wait_alu 0xfffd
	v_add_co_ci_u32_e32 v21, vcc_lo, v25, v9, vcc_lo
	ds_load_2addr_b64 v[8:11], v10 offset1:112
	v_add_nc_u32_e32 v30, 0x770, v30
	v_lshlrev_b64_e32 v[18:19], 3, v[18:19]
	v_add_co_u32 v16, vcc_lo, v24, v16
	s_wait_alu 0xfffd
	v_add_co_ci_u32_e32 v17, vcc_lo, v25, v17, vcc_lo
	v_lshlrev_b64_e32 v[22:23], 3, v[30:31]
	s_delay_alu instid0(VALU_DEP_4) | instskip(SKIP_2) | instid1(VALU_DEP_3)
	v_add_co_u32 v18, vcc_lo, v24, v18
	s_wait_alu 0xfffd
	v_add_co_ci_u32_e32 v19, vcc_lo, v25, v19, vcc_lo
	v_add_co_u32 v22, vcc_lo, v24, v22
	s_wait_alu 0xfffd
	v_add_co_ci_u32_e32 v23, vcc_lo, v25, v23, vcc_lo
	s_wait_dscnt 0x2
	s_clause 0x1
	global_store_b64 v[12:13], v[0:1], off
	global_store_b64 v[14:15], v[2:3], off
	s_wait_dscnt 0x1
	s_clause 0x1
	global_store_b64 v[20:21], v[4:5], off
	global_store_b64 v[16:17], v[6:7], off
	;; [unrolled: 4-line block ×3, first 2 shown]
.LBB0_23:
	s_nop 0
	s_sendmsg sendmsg(MSG_DEALLOC_VGPRS)
	s_endpgm
	.section	.rodata,"a",@progbits
	.p2align	6, 0x0
	.amdhsa_kernel fft_rtc_back_len2016_factors_2_2_2_2_2_3_3_7_wgs_224_tpt_112_halfLds_sp_ip_CI_unitstride_sbrr_C2R_dirReg
		.amdhsa_group_segment_fixed_size 0
		.amdhsa_private_segment_fixed_size 0
		.amdhsa_kernarg_size 88
		.amdhsa_user_sgpr_count 2
		.amdhsa_user_sgpr_dispatch_ptr 0
		.amdhsa_user_sgpr_queue_ptr 0
		.amdhsa_user_sgpr_kernarg_segment_ptr 1
		.amdhsa_user_sgpr_dispatch_id 0
		.amdhsa_user_sgpr_private_segment_size 0
		.amdhsa_wavefront_size32 1
		.amdhsa_uses_dynamic_stack 0
		.amdhsa_enable_private_segment 0
		.amdhsa_system_sgpr_workgroup_id_x 1
		.amdhsa_system_sgpr_workgroup_id_y 0
		.amdhsa_system_sgpr_workgroup_id_z 0
		.amdhsa_system_sgpr_workgroup_info 0
		.amdhsa_system_vgpr_workitem_id 0
		.amdhsa_next_free_vgpr 99
		.amdhsa_next_free_sgpr 32
		.amdhsa_reserve_vcc 1
		.amdhsa_float_round_mode_32 0
		.amdhsa_float_round_mode_16_64 0
		.amdhsa_float_denorm_mode_32 3
		.amdhsa_float_denorm_mode_16_64 3
		.amdhsa_fp16_overflow 0
		.amdhsa_workgroup_processor_mode 1
		.amdhsa_memory_ordered 1
		.amdhsa_forward_progress 0
		.amdhsa_round_robin_scheduling 0
		.amdhsa_exception_fp_ieee_invalid_op 0
		.amdhsa_exception_fp_denorm_src 0
		.amdhsa_exception_fp_ieee_div_zero 0
		.amdhsa_exception_fp_ieee_overflow 0
		.amdhsa_exception_fp_ieee_underflow 0
		.amdhsa_exception_fp_ieee_inexact 0
		.amdhsa_exception_int_div_zero 0
	.end_amdhsa_kernel
	.text
.Lfunc_end0:
	.size	fft_rtc_back_len2016_factors_2_2_2_2_2_3_3_7_wgs_224_tpt_112_halfLds_sp_ip_CI_unitstride_sbrr_C2R_dirReg, .Lfunc_end0-fft_rtc_back_len2016_factors_2_2_2_2_2_3_3_7_wgs_224_tpt_112_halfLds_sp_ip_CI_unitstride_sbrr_C2R_dirReg
                                        ; -- End function
	.section	.AMDGPU.csdata,"",@progbits
; Kernel info:
; codeLenInByte = 13892
; NumSgprs: 34
; NumVgprs: 99
; ScratchSize: 0
; MemoryBound: 0
; FloatMode: 240
; IeeeMode: 1
; LDSByteSize: 0 bytes/workgroup (compile time only)
; SGPRBlocks: 4
; VGPRBlocks: 12
; NumSGPRsForWavesPerEU: 34
; NumVGPRsForWavesPerEU: 99
; Occupancy: 12
; WaveLimiterHint : 1
; COMPUTE_PGM_RSRC2:SCRATCH_EN: 0
; COMPUTE_PGM_RSRC2:USER_SGPR: 2
; COMPUTE_PGM_RSRC2:TRAP_HANDLER: 0
; COMPUTE_PGM_RSRC2:TGID_X_EN: 1
; COMPUTE_PGM_RSRC2:TGID_Y_EN: 0
; COMPUTE_PGM_RSRC2:TGID_Z_EN: 0
; COMPUTE_PGM_RSRC2:TIDIG_COMP_CNT: 0
	.text
	.p2alignl 7, 3214868480
	.fill 96, 4, 3214868480
	.type	__hip_cuid_514e8b4ef2000cfe,@object ; @__hip_cuid_514e8b4ef2000cfe
	.section	.bss,"aw",@nobits
	.globl	__hip_cuid_514e8b4ef2000cfe
__hip_cuid_514e8b4ef2000cfe:
	.byte	0                               ; 0x0
	.size	__hip_cuid_514e8b4ef2000cfe, 1

	.ident	"AMD clang version 19.0.0git (https://github.com/RadeonOpenCompute/llvm-project roc-6.4.0 25133 c7fe45cf4b819c5991fe208aaa96edf142730f1d)"
	.section	".note.GNU-stack","",@progbits
	.addrsig
	.addrsig_sym __hip_cuid_514e8b4ef2000cfe
	.amdgpu_metadata
---
amdhsa.kernels:
  - .args:
      - .actual_access:  read_only
        .address_space:  global
        .offset:         0
        .size:           8
        .value_kind:     global_buffer
      - .offset:         8
        .size:           8
        .value_kind:     by_value
      - .actual_access:  read_only
        .address_space:  global
        .offset:         16
        .size:           8
        .value_kind:     global_buffer
      - .actual_access:  read_only
        .address_space:  global
        .offset:         24
        .size:           8
        .value_kind:     global_buffer
      - .offset:         32
        .size:           8
        .value_kind:     by_value
      - .actual_access:  read_only
        .address_space:  global
        .offset:         40
        .size:           8
        .value_kind:     global_buffer
      - .actual_access:  read_only
        .address_space:  global
        .offset:         48
        .size:           8
        .value_kind:     global_buffer
      - .offset:         56
        .size:           4
        .value_kind:     by_value
      - .actual_access:  read_only
        .address_space:  global
        .offset:         64
        .size:           8
        .value_kind:     global_buffer
      - .actual_access:  read_only
        .address_space:  global
        .offset:         72
        .size:           8
        .value_kind:     global_buffer
      - .address_space:  global
        .offset:         80
        .size:           8
        .value_kind:     global_buffer
    .group_segment_fixed_size: 0
    .kernarg_segment_align: 8
    .kernarg_segment_size: 88
    .language:       OpenCL C
    .language_version:
      - 2
      - 0
    .max_flat_workgroup_size: 224
    .name:           fft_rtc_back_len2016_factors_2_2_2_2_2_3_3_7_wgs_224_tpt_112_halfLds_sp_ip_CI_unitstride_sbrr_C2R_dirReg
    .private_segment_fixed_size: 0
    .sgpr_count:     34
    .sgpr_spill_count: 0
    .symbol:         fft_rtc_back_len2016_factors_2_2_2_2_2_3_3_7_wgs_224_tpt_112_halfLds_sp_ip_CI_unitstride_sbrr_C2R_dirReg.kd
    .uniform_work_group_size: 1
    .uses_dynamic_stack: false
    .vgpr_count:     99
    .vgpr_spill_count: 0
    .wavefront_size: 32
    .workgroup_processor_mode: 1
amdhsa.target:   amdgcn-amd-amdhsa--gfx1201
amdhsa.version:
  - 1
  - 2
...

	.end_amdgpu_metadata
